;; amdgpu-corpus repo=ROCm/rocFFT kind=compiled arch=gfx1100 opt=O3
	.text
	.amdgcn_target "amdgcn-amd-amdhsa--gfx1100"
	.amdhsa_code_object_version 6
	.protected	bluestein_single_back_len374_dim1_dp_op_CI_CI ; -- Begin function bluestein_single_back_len374_dim1_dp_op_CI_CI
	.globl	bluestein_single_back_len374_dim1_dp_op_CI_CI
	.p2align	8
	.type	bluestein_single_back_len374_dim1_dp_op_CI_CI,@function
bluestein_single_back_len374_dim1_dp_op_CI_CI: ; @bluestein_single_back_len374_dim1_dp_op_CI_CI
; %bb.0:
	s_load_b128 s[4:7], s[0:1], 0x28
	v_mul_u32_u24_e32 v1, 0x788, v0
	s_mov_b32 s2, exec_lo
	s_delay_alu instid0(VALU_DEP_1) | instskip(NEXT) | instid1(VALU_DEP_1)
	v_lshrrev_b32_e32 v1, 16, v1
	v_mad_u64_u32 v[140:141], null, s15, 7, v[1:2]
	v_mov_b32_e32 v141, 0
                                        ; kill: def $vgpr2 killed $sgpr0 killed $exec
	s_waitcnt lgkmcnt(0)
	s_delay_alu instid0(VALU_DEP_1)
	v_cmpx_gt_u64_e64 s[4:5], v[140:141]
	s_cbranch_execz .LBB0_23
; %bb.1:
	v_mul_hi_u32 v2, 0x24924925, v140
	v_mul_lo_u16 v1, v1, 34
	s_clause 0x1
	s_load_b64 s[12:13], s[0:1], 0x0
	s_load_b64 s[14:15], s[0:1], 0x38
	s_delay_alu instid0(VALU_DEP_1) | instskip(NEXT) | instid1(VALU_DEP_3)
	v_sub_nc_u16 v0, v0, v1
	v_sub_nc_u32_e32 v3, v140, v2
	s_delay_alu instid0(VALU_DEP_2) | instskip(SKIP_1) | instid1(VALU_DEP_3)
	v_and_b32_e32 v255, 0xffff, v0
	v_cmp_gt_u16_e32 vcc_lo, 22, v0
	v_lshrrev_b32_e32 v3, 1, v3
	s_delay_alu instid0(VALU_DEP_1) | instskip(NEXT) | instid1(VALU_DEP_1)
	v_add_nc_u32_e32 v2, v3, v2
	v_lshrrev_b32_e32 v2, 2, v2
	s_delay_alu instid0(VALU_DEP_1) | instskip(NEXT) | instid1(VALU_DEP_1)
	v_mul_lo_u32 v2, v2, 7
	v_sub_nc_u32_e32 v1, v140, v2
	s_delay_alu instid0(VALU_DEP_1) | instskip(NEXT) | instid1(VALU_DEP_1)
	v_mul_u32_u24_e32 v193, 0x176, v1
	v_lshlrev_b32_e32 v0, 4, v193
	scratch_store_b32 off, v0, off          ; 4-byte Folded Spill
	v_or_b32_e32 v0, 0x160, v255
	scratch_store_b32 off, v0, off offset:308 ; 4-byte Folded Spill
	s_and_saveexec_b32 s3, vcc_lo
	s_cbranch_execz .LBB0_3
; %bb.2:
	s_load_b64 s[4:5], s[0:1], 0x18
	v_or_b32_e32 v68, 0x160, v255
	s_waitcnt lgkmcnt(0)
	s_load_b128 s[8:11], s[4:5], 0x0
	s_waitcnt lgkmcnt(0)
	v_mad_u64_u32 v[60:61], null, s10, v140, 0
	v_lshlrev_b32_e32 v179, 4, v255
	v_mad_u64_u32 v[62:63], null, s8, v255, 0
	v_lshlrev_b32_e32 v48, 4, v68
	s_mul_i32 s4, s9, 0x160
	s_mul_hi_u32 s5, s8, 0x160
	s_delay_alu instid0(VALU_DEP_4) | instskip(SKIP_1) | instid1(VALU_DEP_1)
	v_mov_b32_e32 v44, v61
	v_add_co_u32 v45, s2, s12, v179
	v_add_co_ci_u32_e64 v46, null, s13, 0, s2
	s_add_i32 s5, s5, s4
	s_delay_alu instid0(VALU_DEP_2) | instskip(SKIP_1) | instid1(VALU_DEP_3)
	v_add_co_u32 v128, s2, 0x1000, v45
	v_mov_b32_e32 v45, v63
	v_add_co_ci_u32_e64 v129, s2, 0, v46, s2
	s_clause 0x9
	global_load_b128 v[0:3], v179, s[12:13] offset:352
	global_load_b128 v[4:7], v179, s[12:13] offset:704
	;; [unrolled: 1-line block ×10, first 2 shown]
	v_mad_u64_u32 v[63:64], null, s11, v140, v[44:45]
	v_mad_u64_u32 v[66:67], null, s9, v255, v[45:46]
	v_mad_u64_u32 v[64:65], null, s8, v68, 0
	s_mulk_i32 s8, 0x160
	global_load_b128 v[40:43], v179, s[12:13] offset:3872
	v_mov_b32_e32 v61, v63
	s_clause 0x3
	global_load_b128 v[44:47], v179, s[12:13]
	global_load_b128 v[48:51], v48, s[12:13]
	global_load_b128 v[52:55], v[128:129], off offset:128
	global_load_b128 v[56:59], v[128:129], off offset:480
	v_mov_b32_e32 v63, v66
	v_mad_u64_u32 v[66:67], null, s9, v68, v[65:66]
	v_lshlrev_b64 v[60:61], 4, v[60:61]
	s_delay_alu instid0(VALU_DEP_3) | instskip(NEXT) | instid1(VALU_DEP_2)
	v_lshlrev_b64 v[62:63], 4, v[62:63]
	v_add_co_u32 v71, s2, s6, v60
	s_delay_alu instid0(VALU_DEP_1) | instskip(SKIP_1) | instid1(VALU_DEP_3)
	v_add_co_ci_u32_e64 v74, s2, s7, v61, s2
	v_mov_b32_e32 v65, v66
	v_add_co_u32 v67, s2, v71, v62
	s_delay_alu instid0(VALU_DEP_1) | instskip(NEXT) | instid1(VALU_DEP_3)
	v_add_co_ci_u32_e64 v68, s2, v74, v63, s2
	v_lshlrev_b64 v[60:61], 4, v[64:65]
	s_delay_alu instid0(VALU_DEP_3) | instskip(NEXT) | instid1(VALU_DEP_1)
	v_add_co_u32 v69, s2, v67, s8
	v_add_co_ci_u32_e64 v70, s2, s5, v68, s2
	s_delay_alu instid0(VALU_DEP_2) | instskip(NEXT) | instid1(VALU_DEP_1)
	v_add_co_u32 v72, s2, v69, s8
	v_add_co_ci_u32_e64 v73, s2, s5, v70, s2
	v_add_co_u32 v60, s2, v71, v60
	s_delay_alu instid0(VALU_DEP_1) | instskip(NEXT) | instid1(VALU_DEP_4)
	v_add_co_ci_u32_e64 v61, s2, v74, v61, s2
	v_add_co_u32 v76, s2, v72, s8
	s_delay_alu instid0(VALU_DEP_1) | instskip(SKIP_2) | instid1(VALU_DEP_1)
	v_add_co_ci_u32_e64 v77, s2, s5, v73, s2
	global_load_b128 v[60:63], v[60:61], off
	v_add_co_u32 v80, s2, v76, s8
	v_add_co_ci_u32_e64 v81, s2, s5, v77, s2
	s_clause 0x1
	global_load_b128 v[64:67], v[67:68], off
	global_load_b128 v[68:71], v[69:70], off
	v_add_co_u32 v84, s2, v80, s8
	s_delay_alu instid0(VALU_DEP_1) | instskip(SKIP_4) | instid1(VALU_DEP_1)
	v_add_co_ci_u32_e64 v85, s2, s5, v81, s2
	s_clause 0x1
	global_load_b128 v[72:75], v[72:73], off
	global_load_b128 v[76:79], v[76:77], off
	v_add_co_u32 v88, s2, v84, s8
	v_add_co_ci_u32_e64 v89, s2, s5, v85, s2
	global_load_b128 v[80:83], v[80:81], off
	v_add_co_u32 v92, s2, v88, s8
	s_delay_alu instid0(VALU_DEP_1) | instskip(SKIP_2) | instid1(VALU_DEP_1)
	v_add_co_ci_u32_e64 v93, s2, s5, v89, s2
	global_load_b128 v[84:87], v[84:85], off
	v_add_co_u32 v96, s2, v92, s8
	v_add_co_ci_u32_e64 v97, s2, s5, v93, s2
	global_load_b128 v[88:91], v[88:89], off
	v_add_co_u32 v100, s2, v96, s8
	s_delay_alu instid0(VALU_DEP_1) | instskip(SKIP_2) | instid1(VALU_DEP_1)
	v_add_co_ci_u32_e64 v101, s2, s5, v97, s2
	;; [unrolled: 7-line block ×4, first 2 shown]
	global_load_b128 v[108:111], v[108:109], off
	v_add_co_u32 v120, s2, v116, s8
	v_add_co_ci_u32_e64 v121, s2, s5, v117, s2
	global_load_b128 v[112:115], v[112:113], off
	v_add_co_u32 v132, s2, v120, s8
	s_delay_alu instid0(VALU_DEP_1)
	v_add_co_ci_u32_e64 v133, s2, s5, v121, s2
	global_load_b128 v[116:119], v[116:117], off
	global_load_b128 v[120:123], v[120:121], off
	s_clause 0x1
	global_load_b128 v[124:127], v[128:129], off offset:832
	global_load_b128 v[128:131], v[128:129], off offset:1184
	global_load_b128 v[132:135], v[132:133], off
	s_waitcnt vmcnt(18)
	v_mul_f64 v[138:139], v[62:63], v[50:51]
	v_mul_f64 v[177:178], v[60:61], v[50:51]
	s_waitcnt vmcnt(17)
	v_mul_f64 v[136:137], v[66:67], v[46:47]
	v_mul_f64 v[46:47], v[64:65], v[46:47]
	;; [unrolled: 3-line block ×10, first 2 shown]
	v_fma_f64 v[2:3], v[60:61], v[48:49], v[138:139]
	s_waitcnt vmcnt(8)
	v_mul_f64 v[159:160], v[102:103], v[34:35]
	v_mul_f64 v[34:35], v[100:101], v[34:35]
	s_waitcnt vmcnt(7)
	v_mul_f64 v[161:162], v[106:107], v[38:39]
	v_mul_f64 v[38:39], v[104:105], v[38:39]
	v_fma_f64 v[60:61], v[70:71], v[0:1], -v[143:144]
	s_waitcnt vmcnt(6)
	v_mul_f64 v[163:164], v[110:111], v[42:43]
	v_mul_f64 v[165:166], v[108:109], v[42:43]
	v_fma_f64 v[42:43], v[64:65], v[44:45], v[136:137]
	v_fma_f64 v[44:45], v[66:67], v[44:45], -v[46:47]
	v_fma_f64 v[64:65], v[72:73], v[4:5], v[145:146]
	s_waitcnt vmcnt(5)
	v_mul_f64 v[167:168], v[114:115], v[54:55]
	v_mul_f64 v[54:55], v[112:113], v[54:55]
	s_waitcnt vmcnt(4)
	v_mul_f64 v[169:170], v[118:119], v[58:59]
	v_mul_f64 v[171:172], v[116:117], v[58:59]
	s_waitcnt vmcnt(2)
	v_mul_f64 v[173:174], v[122:123], v[126:127]
	v_mul_f64 v[126:127], v[120:121], v[126:127]
	s_waitcnt vmcnt(0)
	v_mul_f64 v[175:176], v[134:135], v[130:131]
	v_mul_f64 v[130:131], v[132:133], v[130:131]
	v_fma_f64 v[58:59], v[68:69], v[0:1], v[141:142]
	v_fma_f64 v[66:67], v[74:75], v[4:5], -v[6:7]
	v_fma_f64 v[6:7], v[76:77], v[8:9], v[147:148]
	v_fma_f64 v[8:9], v[78:79], v[8:9], -v[10:11]
	;; [unrolled: 2-line block ×7, first 2 shown]
	v_fma_f64 v[4:5], v[62:63], v[48:49], -v[177:178]
	v_fma_f64 v[30:31], v[100:101], v[32:33], v[159:160]
	v_fma_f64 v[32:33], v[102:103], v[32:33], -v[34:35]
	v_lshlrev_b32_e32 v1, 4, v193
	v_fma_f64 v[34:35], v[104:105], v[36:37], v[161:162]
	v_fma_f64 v[36:37], v[106:107], v[36:37], -v[38:39]
	s_delay_alu instid0(VALU_DEP_3)
	v_lshl_add_u32 v0, v255, 4, v1
	v_add_nc_u32_e32 v1, v1, v179
	v_fma_f64 v[38:39], v[108:109], v[40:41], v[163:164]
	v_fma_f64 v[40:41], v[110:111], v[40:41], -v[165:166]
	v_fma_f64 v[50:51], v[112:113], v[52:53], v[167:168]
	v_fma_f64 v[52:53], v[114:115], v[52:53], -v[54:55]
	;; [unrolled: 2-line block ×5, first 2 shown]
	ds_store_b128 v0, v[42:45]
	ds_store_b128 v1, v[58:61] offset:352
	ds_store_b128 v1, v[64:67] offset:704
	;; [unrolled: 1-line block ×16, first 2 shown]
.LBB0_3:
	s_or_b32 exec_lo, exec_lo, s3
	s_waitcnt lgkmcnt(0)
	s_waitcnt_vscnt null, 0x0
	s_barrier
	buffer_gl0_inv
                                        ; implicit-def: $vgpr20_vgpr21
                                        ; implicit-def: $vgpr40_vgpr41
                                        ; implicit-def: $vgpr52_vgpr53
                                        ; implicit-def: $vgpr56_vgpr57
                                        ; implicit-def: $vgpr60_vgpr61
                                        ; implicit-def: $vgpr64_vgpr65
                                        ; implicit-def: $vgpr68_vgpr69
                                        ; implicit-def: $vgpr72_vgpr73
                                        ; implicit-def: $vgpr80_vgpr81
                                        ; implicit-def: $vgpr84_vgpr85
                                        ; implicit-def: $vgpr88_vgpr89
                                        ; implicit-def: $vgpr92_vgpr93
                                        ; implicit-def: $vgpr76_vgpr77
                                        ; implicit-def: $vgpr36_vgpr37
                                        ; implicit-def: $vgpr32_vgpr33
                                        ; implicit-def: $vgpr28_vgpr29
                                        ; implicit-def: $vgpr24_vgpr25
	s_and_saveexec_b32 s2, vcc_lo
	s_cbranch_execz .LBB0_5
; %bb.4:
	v_lshlrev_b32_e32 v0, 4, v255
	s_delay_alu instid0(VALU_DEP_1)
	v_lshl_add_u32 v0, v193, 4, v0
	ds_load_b128 v[20:23], v0
	ds_load_b128 v[40:43], v0 offset:352
	ds_load_b128 v[52:55], v0 offset:704
	;; [unrolled: 1-line block ×16, first 2 shown]
.LBB0_5:
	s_or_b32 exec_lo, exec_lo, s2
	s_waitcnt lgkmcnt(0)
	v_add_f64 v[128:129], v[42:43], -v[26:27]
	v_add_f64 v[143:144], v[54:55], -v[30:31]
	s_mov_b32 s6, 0x5d8e7cdc
	s_mov_b32 s20, 0x2a9d6da3
	;; [unrolled: 1-line block ×4, first 2 shown]
	v_add_f64 v[124:125], v[40:41], v[24:25]
	v_add_f64 v[157:158], v[52:53], -v[28:29]
	s_mov_b32 s2, 0x370991
	s_mov_b32 s3, 0x3fedd6d0
	v_add_f64 v[96:97], v[52:53], v[28:29]
	s_mov_b32 s4, 0x75d4884
	s_mov_b32 s5, 0x3fe7a5f6
	v_add_f64 v[171:172], v[40:41], -v[24:25]
	v_add_f64 v[165:166], v[42:43], v[26:27]
	v_add_f64 v[100:101], v[54:55], v[30:31]
	v_add_f64 v[163:164], v[58:59], -v[34:35]
	s_mov_b32 s30, 0x7c9e640b
	s_mov_b32 s31, 0xbfeca52d
	v_add_f64 v[104:105], v[56:57], v[32:33]
	s_mov_b32 s10, 0x2b2883cd
	s_mov_b32 s11, 0x3fdc86fa
	v_add_f64 v[169:170], v[56:57], -v[32:33]
	v_add_f64 v[112:113], v[58:59], v[34:35]
	v_add_f64 v[173:174], v[62:63], -v[38:39]
	s_mov_b32 s34, 0xeb564b22
	s_mov_b32 s35, 0xbfefdd0d
	v_add_f64 v[108:109], v[60:61], v[36:37]
	s_mov_b32 s18, 0x3259b75e
	s_mov_b32 s19, 0x3fb79ee6
	v_add_f64 v[175:176], v[60:61], -v[36:37]
	v_add_f64 v[120:121], v[62:63], v[38:39]
	v_add_f64 v[177:178], v[66:67], -v[78:79]
	s_mov_b32 s36, 0x923c349f
	s_mov_b32 s37, 0xbfeec746
	v_add_f64 v[116:117], v[64:65], v[76:77]
	s_mov_b32 s22, 0xc61f0d01
	s_mov_b32 s23, 0xbfd183b1
	v_mul_f64 v[0:1], v[128:129], s[6:7]
	v_mul_f64 v[2:3], v[143:144], s[20:21]
	v_add_f64 v[179:180], v[64:65], -v[76:77]
	v_add_f64 v[134:135], v[66:67], v[78:79]
	v_add_f64 v[181:182], v[70:71], -v[94:95]
	s_mov_b32 s38, 0x6c9a05f6
	s_mov_b32 s39, 0xbfe9895b
	v_mul_f64 v[4:5], v[157:158], s[20:21]
	v_add_f64 v[130:131], v[68:69], v[92:93]
	s_mov_b32 s24, 0x6ed5f1bb
	s_mov_b32 s25, 0xbfe348c8
	v_add_f64 v[183:184], v[68:69], -v[92:93]
	v_add_f64 v[145:146], v[70:71], v[94:95]
	v_add_f64 v[185:186], v[74:75], -v[90:91]
	s_mov_b32 s40, 0x4363dd80
	s_mov_b32 s41, 0xbfe0d888
	v_add_f64 v[138:139], v[72:73], v[88:89]
	s_mov_b32 s26, 0x910ea3b9
	s_mov_b32 s27, 0xbfeb34fa
	v_add_f64 v[191:192], v[72:73], -v[88:89]
	v_add_f64 v[153:154], v[74:75], v[90:91]
	v_add_f64 v[203:204], v[82:83], -v[86:87]
	s_mov_b32 s44, 0xacd6c6b4
	s_mov_b32 s45, 0xbfc7851a
	v_add_f64 v[149:150], v[80:81], v[84:85]
	s_mov_b32 s28, 0x7faef3
	s_mov_b32 s29, 0xbfef7484
	v_add_f64 v[209:210], v[80:81], -v[84:85]
	v_add_f64 v[159:160], v[82:83], v[86:87]
	v_mul_f64 v[114:115], v[128:129], s[20:21]
	v_mul_f64 v[126:127], v[171:172], s[20:21]
	s_mov_b32 s49, 0x3fd71e95
	s_mov_b32 s48, s6
	;; [unrolled: 1-line block ×8, first 2 shown]
	s_clause 0x1
	scratch_store_b64 off, v[2:3], off offset:52
	scratch_store_b64 off, v[0:1], off offset:156
	v_fma_f64 v[0:1], v[124:125], s[2:3], v[0:1]
	v_fma_f64 v[2:3], v[96:97], s[4:5], v[2:3]
	v_mul_f64 v[132:133], v[128:129], s[30:31]
	v_mul_f64 v[136:137], v[171:172], s[30:31]
	scratch_store_b64 off, v[4:5], off offset:60 ; 8-byte Folded Spill
	v_fma_f64 v[4:5], v[100:101], s[4:5], -v[4:5]
	s_mov_b32 s55, 0x3fc7851a
	s_mov_b32 s54, s44
	;; [unrolled: 1-line block ×4, first 2 shown]
	v_mul_f64 v[217:218], v[183:184], s[6:7]
	v_mul_f64 v[141:142], v[128:129], s[34:35]
	v_mul_f64 v[147:148], v[171:172], s[34:35]
	v_mul_f64 v[207:208], v[179:180], s[30:31]
	v_mul_f64 v[233:234], v[183:184], s[40:41]
	s_mov_b32 s57, 0x3fe9895b
	s_mov_b32 s56, s38
	v_mul_f64 v[151:152], v[128:129], s[36:37]
	v_mul_f64 v[155:156], v[171:172], s[36:37]
	;; [unrolled: 1-line block ×5, first 2 shown]
	s_mov_b32 s59, 0x3fefdd0d
	s_mov_b32 s58, s34
	v_mul_f64 v[219:220], v[191:192], s[6:7]
	v_mul_f64 v[227:228], v[181:182], s[58:59]
	;; [unrolled: 1-line block ×14, first 2 shown]
	v_add_f64 v[0:1], v[20:21], v[0:1]
	v_mul_f64 v[205:206], v[203:204], s[42:43]
	v_mul_f64 v[231:232], v[209:210], s[42:43]
	;; [unrolled: 1-line block ×14, first 2 shown]
	v_add_f64 v[0:1], v[2:3], v[0:1]
	v_mul_f64 v[2:3], v[171:172], s[6:7]
	v_fma_f64 v[98:99], v[100:101], s[10:11], -v[213:214]
	scratch_store_b64 off, v[2:3], off offset:244 ; 8-byte Folded Spill
	v_fma_f64 v[2:3], v[165:166], s[2:3], -v[2:3]
	s_delay_alu instid0(VALU_DEP_1) | instskip(NEXT) | instid1(VALU_DEP_1)
	v_add_f64 v[2:3], v[22:23], v[2:3]
	v_add_f64 v[2:3], v[4:5], v[2:3]
	v_mul_f64 v[4:5], v[163:164], s[30:31]
	scratch_store_b64 off, v[4:5], off offset:76 ; 8-byte Folded Spill
	v_fma_f64 v[4:5], v[104:105], s[10:11], v[4:5]
	s_delay_alu instid0(VALU_DEP_1) | instskip(SKIP_3) | instid1(VALU_DEP_1)
	v_add_f64 v[0:1], v[4:5], v[0:1]
	v_mul_f64 v[4:5], v[169:170], s[30:31]
	scratch_store_b64 off, v[4:5], off offset:108 ; 8-byte Folded Spill
	v_fma_f64 v[4:5], v[112:113], s[10:11], -v[4:5]
	v_add_f64 v[2:3], v[4:5], v[2:3]
	v_mul_f64 v[4:5], v[173:174], s[34:35]
	scratch_store_b64 off, v[4:5], off offset:92 ; 8-byte Folded Spill
	v_fma_f64 v[4:5], v[108:109], s[18:19], v[4:5]
	s_delay_alu instid0(VALU_DEP_1) | instskip(SKIP_3) | instid1(VALU_DEP_1)
	v_add_f64 v[0:1], v[4:5], v[0:1]
	v_mul_f64 v[4:5], v[175:176], s[34:35]
	scratch_store_b64 off, v[4:5], off offset:140 ; 8-byte Folded Spill
	v_fma_f64 v[4:5], v[120:121], s[18:19], -v[4:5]
	;; [unrolled: 9-line block ×6, first 2 shown]
	v_add_f64 v[2:3], v[4:5], v[2:3]
	v_fma_f64 v[4:5], v[124:125], s[4:5], v[114:115]
	scratch_store_b128 off, v[0:3], off offset:4 ; 16-byte Folded Spill
	v_mul_f64 v[0:1], v[143:144], s[34:35]
	v_add_f64 v[4:5], v[20:21], v[4:5]
	v_mul_f64 v[2:3], v[209:210], s[48:49]
	s_delay_alu instid0(VALU_DEP_3)
	v_fma_f64 v[6:7], v[96:97], s[18:19], v[0:1]
	s_clause 0x1
	scratch_store_b64 off, v[0:1], off offset:260
	scratch_store_b64 off, v[2:3], off offset:412
	v_mul_f64 v[0:1], v[157:158], s[34:35]
	v_add_f64 v[4:5], v[6:7], v[4:5]
	v_fma_f64 v[6:7], v[165:166], s[4:5], -v[126:127]
	scratch_store_b64 off, v[0:1], off offset:316 ; 8-byte Folded Spill
	v_fma_f64 v[8:9], v[100:101], s[18:19], -v[0:1]
	v_mul_f64 v[0:1], v[163:164], s[38:39]
	v_add_f64 v[6:7], v[22:23], v[6:7]
	scratch_store_b64 off, v[0:1], off offset:276 ; 8-byte Folded Spill
	v_add_f64 v[6:7], v[8:9], v[6:7]
	v_fma_f64 v[8:9], v[104:105], s[24:25], v[0:1]
	v_mul_f64 v[0:1], v[169:170], s[38:39]
	s_delay_alu instid0(VALU_DEP_2) | instskip(SKIP_3) | instid1(VALU_DEP_2)
	v_add_f64 v[4:5], v[8:9], v[4:5]
	scratch_store_b64 off, v[0:1], off offset:332 ; 8-byte Folded Spill
	v_fma_f64 v[8:9], v[112:113], s[24:25], -v[0:1]
	v_mul_f64 v[0:1], v[173:174], s[44:45]
	v_add_f64 v[6:7], v[8:9], v[6:7]
	scratch_store_b64 off, v[0:1], off offset:292 ; 8-byte Folded Spill
	v_fma_f64 v[8:9], v[108:109], s[28:29], v[0:1]
	v_mul_f64 v[0:1], v[175:176], s[44:45]
	s_delay_alu instid0(VALU_DEP_2) | instskip(SKIP_3) | instid1(VALU_DEP_2)
	v_add_f64 v[4:5], v[8:9], v[4:5]
	scratch_store_b64 off, v[0:1], off offset:356 ; 8-byte Folded Spill
	v_fma_f64 v[8:9], v[120:121], s[28:29], -v[0:1]
	v_mul_f64 v[0:1], v[177:178], s[50:51]
	v_add_f64 v[6:7], v[8:9], v[6:7]
	scratch_store_b64 off, v[0:1], off offset:340 ; 8-byte Folded Spill
	;; [unrolled: 9-line block ×4, first 2 shown]
	v_fma_f64 v[8:9], v[138:139], s[10:11], v[0:1]
	v_mul_f64 v[0:1], v[191:192], s[42:43]
	s_delay_alu instid0(VALU_DEP_2) | instskip(SKIP_3) | instid1(VALU_DEP_2)
	v_add_f64 v[4:5], v[8:9], v[4:5]
	scratch_store_b64 off, v[0:1], off offset:388 ; 8-byte Folded Spill
	v_fma_f64 v[8:9], v[153:154], s[10:11], -v[0:1]
	v_mul_f64 v[0:1], v[203:204], s[48:49]
	v_add_f64 v[6:7], v[8:9], v[6:7]
	s_delay_alu instid0(VALU_DEP_2) | instskip(SKIP_4) | instid1(VALU_DEP_2)
	v_fma_f64 v[8:9], v[149:150], s[2:3], v[0:1]
	scratch_store_b64 off, v[0:1], off offset:364 ; 8-byte Folded Spill
	v_add_f64 v[0:1], v[8:9], v[4:5]
	v_fma_f64 v[8:9], v[159:160], s[2:3], -v[2:3]
	v_mul_f64 v[4:5], v[143:144], s[38:39]
	v_add_f64 v[2:3], v[8:9], v[6:7]
	v_fma_f64 v[8:9], v[124:125], s[10:11], v[132:133]
	s_delay_alu instid0(VALU_DEP_3)
	v_fma_f64 v[10:11], v[96:97], s[24:25], v[4:5]
	v_mul_f64 v[6:7], v[163:164], s[54:55]
	scratch_store_b128 off, v[0:3], off offset:20 ; 16-byte Folded Spill
	v_add_f64 v[8:9], v[20:21], v[8:9]
	v_mul_f64 v[0:1], v[157:158], s[38:39]
	v_mul_f64 v[2:3], v[209:210], s[40:41]
	s_delay_alu instid0(VALU_DEP_3) | instskip(SKIP_1) | instid1(VALU_DEP_4)
	v_add_f64 v[8:9], v[10:11], v[8:9]
	v_fma_f64 v[10:11], v[165:166], s[10:11], -v[136:137]
	v_fma_f64 v[12:13], v[100:101], s[24:25], -v[0:1]
	scratch_store_b64 off, v[0:1], off offset:404 ; 8-byte Folded Spill
	v_mul_f64 v[0:1], v[169:170], s[54:55]
	scratch_store_b64 off, v[2:3], off offset:516 ; 8-byte Folded Spill
	v_add_f64 v[10:11], v[22:23], v[10:11]
	scratch_store_b64 off, v[0:1], off offset:428 ; 8-byte Folded Spill
	v_add_f64 v[10:11], v[12:13], v[10:11]
	v_fma_f64 v[12:13], v[104:105], s[28:29], v[6:7]
	s_delay_alu instid0(VALU_DEP_1) | instskip(SKIP_2) | instid1(VALU_DEP_2)
	v_add_f64 v[8:9], v[12:13], v[8:9]
	v_fma_f64 v[12:13], v[112:113], s[28:29], -v[0:1]
	v_mul_f64 v[0:1], v[173:174], s[46:47]
	v_add_f64 v[10:11], v[12:13], v[10:11]
	scratch_store_b64 off, v[0:1], off offset:396 ; 8-byte Folded Spill
	v_fma_f64 v[12:13], v[108:109], s[22:23], v[0:1]
	v_mul_f64 v[0:1], v[175:176], s[46:47]
	s_delay_alu instid0(VALU_DEP_2) | instskip(SKIP_3) | instid1(VALU_DEP_2)
	v_add_f64 v[8:9], v[12:13], v[8:9]
	scratch_store_b64 off, v[0:1], off offset:484 ; 8-byte Folded Spill
	v_fma_f64 v[12:13], v[120:121], s[22:23], -v[0:1]
	v_mul_f64 v[0:1], v[177:178], s[52:53]
	v_add_f64 v[10:11], v[12:13], v[10:11]
	scratch_store_b64 off, v[0:1], off offset:476 ; 8-byte Folded Spill
	v_fma_f64 v[12:13], v[116:117], s[4:5], v[0:1]
	v_mul_f64 v[0:1], v[179:180], s[52:53]
	s_delay_alu instid0(VALU_DEP_2) | instskip(SKIP_3) | instid1(VALU_DEP_2)
	v_add_f64 v[8:9], v[12:13], v[8:9]
	scratch_store_b64 off, v[0:1], off offset:604 ; 8-byte Folded Spill
	v_fma_f64 v[12:13], v[134:135], s[4:5], -v[0:1]
	v_mul_f64 v[0:1], v[181:182], s[6:7]
	v_add_f64 v[10:11], v[12:13], v[10:11]
	s_delay_alu instid0(VALU_DEP_2)
	v_fma_f64 v[12:13], v[130:131], s[2:3], v[0:1]
	scratch_store_b64 off, v[0:1], off offset:572 ; 8-byte Folded Spill
	v_mul_f64 v[0:1], v[185:186], s[34:35]
	v_add_f64 v[8:9], v[12:13], v[8:9]
	v_fma_f64 v[12:13], v[145:146], s[2:3], -v[217:218]
	scratch_store_b64 off, v[0:1], off offset:468 ; 8-byte Folded Spill
	v_add_f64 v[10:11], v[12:13], v[10:11]
	v_fma_f64 v[12:13], v[138:139], s[18:19], v[0:1]
	v_mul_f64 v[0:1], v[191:192], s[34:35]
	s_delay_alu instid0(VALU_DEP_2) | instskip(SKIP_3) | instid1(VALU_DEP_2)
	v_add_f64 v[8:9], v[12:13], v[8:9]
	scratch_store_b64 off, v[0:1], off offset:524 ; 8-byte Folded Spill
	v_fma_f64 v[12:13], v[153:154], s[18:19], -v[0:1]
	v_mul_f64 v[0:1], v[203:204], s[40:41]
	v_add_f64 v[10:11], v[12:13], v[10:11]
	s_delay_alu instid0(VALU_DEP_2) | instskip(SKIP_4) | instid1(VALU_DEP_2)
	v_fma_f64 v[12:13], v[149:150], s[26:27], v[0:1]
	scratch_store_b64 off, v[0:1], off offset:452 ; 8-byte Folded Spill
	v_add_f64 v[0:1], v[12:13], v[8:9]
	v_fma_f64 v[12:13], v[159:160], s[26:27], -v[2:3]
	v_mul_f64 v[8:9], v[163:164], s[46:47]
	v_add_f64 v[2:3], v[12:13], v[10:11]
	v_fma_f64 v[12:13], v[124:125], s[18:19], v[141:142]
	scratch_store_b128 off, v[0:3], off offset:36 ; 16-byte Folded Spill
	v_mul_f64 v[2:3], v[143:144], s[44:45]
	v_add_f64 v[12:13], v[20:21], v[12:13]
	v_mul_f64 v[0:1], v[157:158], s[44:45]
	s_delay_alu instid0(VALU_DEP_3) | instskip(NEXT) | instid1(VALU_DEP_2)
	v_fma_f64 v[14:15], v[96:97], s[28:29], v[2:3]
	v_fma_f64 v[16:17], v[100:101], s[28:29], -v[0:1]
	scratch_store_b64 off, v[0:1], off offset:460 ; 8-byte Folded Spill
	v_mul_f64 v[0:1], v[169:170], s[46:47]
	v_add_f64 v[12:13], v[14:15], v[12:13]
	v_fma_f64 v[14:15], v[165:166], s[18:19], -v[147:148]
	scratch_store_b64 off, v[0:1], off offset:540 ; 8-byte Folded Spill
	v_add_f64 v[14:15], v[22:23], v[14:15]
	s_delay_alu instid0(VALU_DEP_1) | instskip(SKIP_1) | instid1(VALU_DEP_1)
	v_add_f64 v[14:15], v[16:17], v[14:15]
	v_fma_f64 v[16:17], v[104:105], s[22:23], v[8:9]
	v_add_f64 v[12:13], v[16:17], v[12:13]
	v_fma_f64 v[16:17], v[112:113], s[22:23], -v[0:1]
	v_mul_f64 v[0:1], v[173:174], s[48:49]
	s_delay_alu instid0(VALU_DEP_2) | instskip(SKIP_3) | instid1(VALU_DEP_2)
	v_add_f64 v[14:15], v[16:17], v[14:15]
	scratch_store_b64 off, v[0:1], off offset:444 ; 8-byte Folded Spill
	v_fma_f64 v[16:17], v[108:109], s[2:3], v[0:1]
	v_mul_f64 v[0:1], v[175:176], s[48:49]
	v_add_f64 v[12:13], v[16:17], v[12:13]
	scratch_store_b64 off, v[0:1], off offset:620 ; 8-byte Folded Spill
	v_fma_f64 v[16:17], v[120:121], s[2:3], -v[0:1]
	v_mul_f64 v[0:1], v[177:178], s[30:31]
	s_delay_alu instid0(VALU_DEP_2) | instskip(NEXT) | instid1(VALU_DEP_2)
	v_add_f64 v[14:15], v[16:17], v[14:15]
	v_fma_f64 v[16:17], v[116:117], s[10:11], v[0:1]
	scratch_store_b64 off, v[0:1], off offset:564 ; 8-byte Folded Spill
	v_mul_f64 v[0:1], v[181:182], s[40:41]
	v_add_f64 v[12:13], v[16:17], v[12:13]
	v_fma_f64 v[16:17], v[134:135], s[10:11], -v[207:208]
	scratch_store_b64 off, v[0:1], off offset:668 ; 8-byte Folded Spill
	v_add_f64 v[14:15], v[16:17], v[14:15]
	v_fma_f64 v[16:17], v[130:131], s[26:27], v[0:1]
	v_mul_f64 v[0:1], v[185:186], s[56:57]
	s_delay_alu instid0(VALU_DEP_2)
	v_add_f64 v[12:13], v[16:17], v[12:13]
	v_fma_f64 v[16:17], v[145:146], s[26:27], -v[233:234]
	scratch_store_b64 off, v[0:1], off offset:556 ; 8-byte Folded Spill
	v_add_f64 v[14:15], v[16:17], v[14:15]
	v_fma_f64 v[16:17], v[138:139], s[24:25], v[0:1]
	v_mul_f64 v[0:1], v[191:192], s[56:57]
	s_delay_alu instid0(VALU_DEP_2) | instskip(SKIP_3) | instid1(VALU_DEP_2)
	v_add_f64 v[12:13], v[16:17], v[12:13]
	scratch_store_b64 off, v[0:1], off offset:628 ; 8-byte Folded Spill
	v_fma_f64 v[16:17], v[153:154], s[24:25], -v[0:1]
	v_mul_f64 v[0:1], v[203:204], s[52:53]
	v_add_f64 v[14:15], v[16:17], v[14:15]
	scratch_store_b64 off, v[0:1], off offset:532 ; 8-byte Folded Spill
	v_fma_f64 v[16:17], v[149:150], s[4:5], v[0:1]
	v_mul_f64 v[0:1], v[209:210], s[52:53]
	s_delay_alu instid0(VALU_DEP_2) | instskip(NEXT) | instid1(VALU_DEP_2)
	v_add_f64 v[11:12], v[16:17], v[12:13]
	v_fma_f64 v[16:17], v[159:160], s[4:5], -v[0:1]
	scratch_store_b64 off, v[0:1], off offset:612 ; 8-byte Folded Spill
	v_mul_f64 v[0:1], v[143:144], s[50:51]
	v_add_f64 v[13:14], v[16:17], v[14:15]
	v_fma_f64 v[16:17], v[124:125], s[22:23], v[151:152]
	s_delay_alu instid0(VALU_DEP_3)
	v_fma_f64 v[18:19], v[96:97], s[26:27], v[0:1]
	scratch_store_b64 off, v[0:1], off offset:436 ; 8-byte Folded Spill
	v_mul_f64 v[0:1], v[157:158], s[50:51]
	v_add_f64 v[16:17], v[20:21], v[16:17]
	scratch_store_b64 off, v[0:1], off offset:548 ; 8-byte Folded Spill
	v_fma_f64 v[44:45], v[100:101], s[26:27], -v[0:1]
	v_mul_f64 v[0:1], v[163:164], s[52:53]
	v_add_f64 v[16:17], v[18:19], v[16:17]
	v_fma_f64 v[18:19], v[165:166], s[22:23], -v[155:156]
	scratch_store_b64 off, v[0:1], off offset:492 ; 8-byte Folded Spill
	v_add_f64 v[18:19], v[22:23], v[18:19]
	s_delay_alu instid0(VALU_DEP_1) | instskip(SKIP_2) | instid1(VALU_DEP_2)
	v_add_f64 v[18:19], v[44:45], v[18:19]
	v_fma_f64 v[44:45], v[104:105], s[4:5], v[0:1]
	v_mul_f64 v[0:1], v[169:170], s[52:53]
	v_add_f64 v[16:17], v[44:45], v[16:17]
	scratch_store_b64 off, v[0:1], off offset:644 ; 8-byte Folded Spill
	v_fma_f64 v[44:45], v[112:113], s[4:5], -v[0:1]
	v_mul_f64 v[0:1], v[173:174], s[30:31]
	s_delay_alu instid0(VALU_DEP_2) | instskip(NEXT) | instid1(VALU_DEP_2)
	v_add_f64 v[18:19], v[44:45], v[18:19]
	v_fma_f64 v[44:45], v[108:109], s[10:11], v[0:1]
	scratch_store_b64 off, v[0:1], off offset:508 ; 8-byte Folded Spill
	v_mul_f64 v[0:1], v[185:186], s[6:7]
	v_add_f64 v[16:17], v[44:45], v[16:17]
	v_fma_f64 v[44:45], v[120:121], s[10:11], -v[215:216]
	scratch_store_b64 off, v[0:1], off offset:660 ; 8-byte Folded Spill
	v_add_f64 v[18:19], v[44:45], v[18:19]
	v_fma_f64 v[44:45], v[116:117], s[28:29], v[199:200]
	s_delay_alu instid0(VALU_DEP_1) | instskip(SKIP_1) | instid1(VALU_DEP_1)
	v_add_f64 v[16:17], v[44:45], v[16:17]
	v_fma_f64 v[44:45], v[134:135], s[28:29], -v[241:242]
	v_add_f64 v[18:19], v[44:45], v[18:19]
	v_fma_f64 v[44:45], v[130:131], s[18:19], v[227:228]
	s_delay_alu instid0(VALU_DEP_1) | instskip(SKIP_1) | instid1(VALU_DEP_1)
	v_add_f64 v[16:17], v[44:45], v[16:17]
	v_fma_f64 v[44:45], v[145:146], s[18:19], -v[102:103]
	v_add_f64 v[18:19], v[44:45], v[18:19]
	v_fma_f64 v[44:45], v[138:139], s[2:3], v[0:1]
	v_mul_f64 v[0:1], v[203:204], s[38:39]
	s_delay_alu instid0(VALU_DEP_2)
	v_add_f64 v[16:17], v[44:45], v[16:17]
	v_fma_f64 v[44:45], v[153:154], s[2:3], -v[219:220]
	scratch_store_b64 off, v[0:1], off offset:636 ; 8-byte Folded Spill
	v_add_f64 v[18:19], v[44:45], v[18:19]
	v_fma_f64 v[44:45], v[149:150], s[24:25], v[0:1]
	v_mul_f64 v[0:1], v[143:144], s[46:47]
	s_delay_alu instid0(VALU_DEP_2) | instskip(SKIP_1) | instid1(VALU_DEP_3)
	v_add_f64 v[16:17], v[44:45], v[16:17]
	v_fma_f64 v[44:45], v[159:160], s[24:25], -v[211:212]
	v_fma_f64 v[46:47], v[96:97], s[22:23], v[0:1]
	scratch_store_b64 off, v[0:1], off offset:500 ; 8-byte Folded Spill
	v_mul_f64 v[0:1], v[157:158], s[46:47]
	v_add_f64 v[18:19], v[44:45], v[18:19]
	v_fma_f64 v[44:45], v[124:125], s[24:25], v[161:162]
	scratch_store_b64 off, v[0:1], off offset:652 ; 8-byte Folded Spill
	v_fma_f64 v[48:49], v[100:101], s[22:23], -v[0:1]
	v_mul_f64 v[0:1], v[163:164], s[6:7]
	v_add_f64 v[44:45], v[20:21], v[44:45]
	scratch_store_b64 off, v[0:1], off offset:588 ; 8-byte Folded Spill
	v_add_f64 v[44:45], v[46:47], v[44:45]
	v_fma_f64 v[46:47], v[165:166], s[24:25], -v[167:168]
	s_delay_alu instid0(VALU_DEP_1) | instskip(NEXT) | instid1(VALU_DEP_1)
	v_add_f64 v[46:47], v[22:23], v[46:47]
	v_add_f64 v[46:47], v[48:49], v[46:47]
	v_fma_f64 v[48:49], v[104:105], s[2:3], v[0:1]
	v_mul_f64 v[0:1], v[173:174], s[40:41]
	s_delay_alu instid0(VALU_DEP_2)
	v_add_f64 v[44:45], v[48:49], v[44:45]
	v_fma_f64 v[48:49], v[112:113], s[2:3], -v[223:224]
	scratch_store_b64 off, v[0:1], off offset:596 ; 8-byte Folded Spill
	v_add_f64 v[46:47], v[48:49], v[46:47]
	v_fma_f64 v[48:49], v[108:109], s[26:27], v[0:1]
	v_mul_f64 v[0:1], v[143:144], s[42:43]
	s_delay_alu instid0(VALU_DEP_2)
	v_add_f64 v[44:45], v[48:49], v[44:45]
	v_fma_f64 v[48:49], v[120:121], s[26:27], -v[243:244]
	scratch_store_b64 off, v[0:1], off offset:580 ; 8-byte Folded Spill
	s_clause 0x1
	s_load_b64 s[16:17], s[0:1], 0x20
	s_load_b64 s[8:9], s[0:1], 0x8
	s_waitcnt lgkmcnt(0)
	s_waitcnt_vscnt null, 0x0
	s_barrier
	buffer_gl0_inv
	v_add_f64 v[46:47], v[48:49], v[46:47]
	v_fma_f64 v[48:49], v[116:117], s[18:19], v[225:226]
	s_delay_alu instid0(VALU_DEP_1) | instskip(SKIP_1) | instid1(VALU_DEP_1)
	v_add_f64 v[44:45], v[48:49], v[44:45]
	v_fma_f64 v[48:49], v[134:135], s[18:19], -v[253:254]
	v_add_f64 v[46:47], v[48:49], v[46:47]
	v_fma_f64 v[48:49], v[130:131], s[4:5], v[247:248]
	s_delay_alu instid0(VALU_DEP_1) | instskip(SKIP_1) | instid1(VALU_DEP_1)
	v_add_f64 v[44:45], v[48:49], v[44:45]
	v_fma_f64 v[48:49], v[145:146], s[4:5], -v[118:119]
	;; [unrolled: 5-line block ×4, first 2 shown]
	v_add_f64 v[50:51], v[44:45], v[46:47]
	v_fma_f64 v[44:45], v[124:125], s[26:27], v[187:188]
	v_fma_f64 v[46:47], v[96:97], s[10:11], v[0:1]
	v_mul_lo_u16 v0, v255, 17
	scratch_store_b32 off, v0, off offset:312 ; 4-byte Folded Spill
	v_add_f64 v[44:45], v[20:21], v[44:45]
	s_delay_alu instid0(VALU_DEP_1) | instskip(SKIP_1) | instid1(VALU_DEP_1)
	v_add_f64 v[44:45], v[46:47], v[44:45]
	v_fma_f64 v[46:47], v[165:166], s[26:27], -v[189:190]
	v_add_f64 v[46:47], v[22:23], v[46:47]
	s_delay_alu instid0(VALU_DEP_1) | instskip(SKIP_1) | instid1(VALU_DEP_1)
	v_add_f64 v[46:47], v[98:99], v[46:47]
	v_fma_f64 v[98:99], v[104:105], s[18:19], v[197:198]
	v_add_f64 v[44:45], v[98:99], v[44:45]
	v_fma_f64 v[98:99], v[112:113], s[18:19], -v[239:240]
	s_delay_alu instid0(VALU_DEP_1) | instskip(SKIP_1) | instid1(VALU_DEP_1)
	v_add_f64 v[46:47], v[98:99], v[46:47]
	v_fma_f64 v[98:99], v[108:109], s[24:25], v[201:202]
	v_add_f64 v[44:45], v[98:99], v[44:45]
	v_fma_f64 v[98:99], v[120:121], s[24:25], -v[251:252]
	;; [unrolled: 5-line block ×4, first 2 shown]
	s_delay_alu instid0(VALU_DEP_1) | instskip(SKIP_1) | instid1(VALU_DEP_1)
	v_add_f64 v[46:47], v[98:99], v[46:47]
	v_fma_f64 v[98:99], v[138:139], s[4:5], v[237:238]
	v_add_f64 v[44:45], v[98:99], v[44:45]
	v_mul_f64 v[98:99], v[191:192], s[52:53]
	s_delay_alu instid0(VALU_DEP_1) | instskip(NEXT) | instid1(VALU_DEP_1)
	v_fma_f64 v[229:230], v[153:154], s[4:5], -v[98:99]
	v_add_f64 v[46:47], v[229:230], v[46:47]
	v_mul_f64 v[229:230], v[203:204], s[36:37]
	s_delay_alu instid0(VALU_DEP_1) | instskip(NEXT) | instid1(VALU_DEP_1)
	v_fma_f64 v[249:250], v[149:150], s[22:23], v[229:230]
	v_add_f64 v[44:45], v[249:250], v[44:45]
	v_mul_f64 v[249:250], v[209:210], s[36:37]
	s_delay_alu instid0(VALU_DEP_1) | instskip(NEXT) | instid1(VALU_DEP_1)
	v_fma_f64 v[194:195], v[159:160], s[22:23], -v[249:250]
	v_add_f64 v[46:47], v[194:195], v[46:47]
	s_and_saveexec_b32 s0, vcc_lo
	s_cbranch_execz .LBB0_7
; %bb.6:
	scratch_load_b64 v[0:1], off, off offset:244 ; 8-byte Folded Reload
	v_add_f64 v[40:41], v[20:21], v[40:41]
	v_add_f64 v[42:43], v[22:23], v[42:43]
	s_delay_alu instid0(VALU_DEP_2) | instskip(NEXT) | instid1(VALU_DEP_2)
	v_add_f64 v[40:41], v[40:41], v[52:53]
	v_add_f64 v[42:43], v[42:43], v[54:55]
	v_mul_f64 v[52:53], v[165:166], s[18:19]
	v_mul_f64 v[54:55], v[124:125], s[18:19]
	s_delay_alu instid0(VALU_DEP_4) | instskip(NEXT) | instid1(VALU_DEP_4)
	v_add_f64 v[40:41], v[40:41], v[56:57]
	v_add_f64 v[42:43], v[42:43], v[58:59]
	s_delay_alu instid0(VALU_DEP_4)
	v_add_f64 v[52:53], v[147:148], v[52:53]
	v_mul_f64 v[58:59], v[124:125], s[10:11]
	v_add_f64 v[54:55], v[54:55], -v[141:142]
	v_mul_f64 v[56:57], v[165:166], s[10:11]
	v_add_f64 v[40:41], v[40:41], v[60:61]
	v_add_f64 v[42:43], v[42:43], v[62:63]
	v_mul_f64 v[62:63], v[124:125], s[4:5]
	v_add_f64 v[58:59], v[58:59], -v[132:133]
	v_mul_f64 v[60:61], v[165:166], s[4:5]
	v_add_f64 v[56:57], v[136:137], v[56:57]
	v_add_f64 v[40:41], v[40:41], v[64:65]
	;; [unrolled: 1-line block ×3, first 2 shown]
	v_mul_f64 v[64:65], v[165:166], s[2:3]
	v_mul_f64 v[66:67], v[128:129], s[44:45]
	v_add_f64 v[62:63], v[62:63], -v[114:115]
	v_add_f64 v[60:61], v[126:127], v[60:61]
	v_mul_f64 v[114:115], v[159:160], s[18:19]
	v_add_f64 v[40:41], v[40:41], v[68:69]
	v_add_f64 v[42:43], v[42:43], v[70:71]
	v_mul_f64 v[70:71], v[124:125], s[2:3]
	v_fma_f64 v[68:69], v[124:125], s[28:29], v[66:67]
	v_fma_f64 v[66:67], v[124:125], s[28:29], -v[66:67]
	v_add_f64 v[40:41], v[40:41], v[72:73]
	v_add_f64 v[42:43], v[42:43], v[74:75]
	s_delay_alu instid0(VALU_DEP_4) | instskip(NEXT) | instid1(VALU_DEP_4)
	v_add_f64 v[68:69], v[20:21], v[68:69]
	v_add_f64 v[66:67], v[20:21], v[66:67]
	s_delay_alu instid0(VALU_DEP_4) | instskip(NEXT) | instid1(VALU_DEP_4)
	v_add_f64 v[40:41], v[40:41], v[80:81]
	v_add_f64 v[42:43], v[42:43], v[82:83]
	s_delay_alu instid0(VALU_DEP_2) | instskip(NEXT) | instid1(VALU_DEP_2)
	v_add_f64 v[40:41], v[40:41], v[84:85]
	v_add_f64 v[42:43], v[42:43], v[86:87]
	s_waitcnt vmcnt(0)
	v_add_f64 v[64:65], v[0:1], v[64:65]
	scratch_load_b64 v[0:1], off, off offset:156 ; 8-byte Folded Reload
	v_add_f64 v[40:41], v[40:41], v[88:89]
	v_add_f64 v[42:43], v[42:43], v[90:91]
	;; [unrolled: 1-line block ×3, first 2 shown]
	s_delay_alu instid0(VALU_DEP_3) | instskip(NEXT) | instid1(VALU_DEP_3)
	v_add_f64 v[40:41], v[40:41], v[92:93]
	v_add_f64 v[42:43], v[42:43], v[94:95]
	v_mul_f64 v[94:95], v[203:204], s[58:59]
	s_delay_alu instid0(VALU_DEP_3) | instskip(NEXT) | instid1(VALU_DEP_3)
	v_add_f64 v[40:41], v[40:41], v[76:77]
	v_add_f64 v[42:43], v[42:43], v[78:79]
	s_delay_alu instid0(VALU_DEP_2) | instskip(NEXT) | instid1(VALU_DEP_2)
	v_add_f64 v[36:37], v[40:41], v[36:37]
	v_add_f64 v[38:39], v[42:43], v[38:39]
	v_mul_f64 v[40:41], v[165:166], s[22:23]
	v_mul_f64 v[42:43], v[124:125], s[22:23]
	s_delay_alu instid0(VALU_DEP_4) | instskip(NEXT) | instid1(VALU_DEP_4)
	v_add_f64 v[32:33], v[36:37], v[32:33]
	v_add_f64 v[34:35], v[38:39], v[34:35]
	v_mul_f64 v[38:39], v[124:125], s[24:25]
	v_add_f64 v[40:41], v[155:156], v[40:41]
	v_mul_f64 v[36:37], v[165:166], s[24:25]
	v_add_f64 v[42:43], v[42:43], -v[151:152]
	v_add_f64 v[28:29], v[32:33], v[28:29]
	v_add_f64 v[30:31], v[34:35], v[30:31]
	v_mul_f64 v[34:35], v[124:125], s[26:27]
	v_add_f64 v[38:39], v[38:39], -v[161:162]
	v_add_f64 v[80:81], v[22:23], v[40:41]
	v_add_f64 v[40:41], v[22:23], v[52:53]
	v_mul_f64 v[52:53], v[100:101], s[2:3]
	v_mul_f64 v[32:33], v[165:166], s[26:27]
	v_add_f64 v[36:37], v[167:168], v[36:37]
	v_add_f64 v[82:83], v[20:21], v[42:43]
	;; [unrolled: 1-line block ×3, first 2 shown]
	v_mul_f64 v[54:55], v[112:113], s[26:27]
	v_add_f64 v[24:25], v[28:29], v[24:25]
	v_mul_f64 v[28:29], v[165:166], s[28:29]
	v_add_f64 v[26:27], v[30:31], v[26:27]
	v_add_f64 v[34:35], v[34:35], -v[187:188]
	v_add_f64 v[78:79], v[20:21], v[38:39]
	v_add_f64 v[38:39], v[20:21], v[58:59]
	;; [unrolled: 1-line block ×5, first 2 shown]
	v_fma_f64 v[56:57], v[169:170], s[50:51], v[54:55]
	v_fma_f64 v[54:55], v[169:170], s[40:41], v[54:55]
	;; [unrolled: 1-line block ×4, first 2 shown]
	v_add_f64 v[74:75], v[20:21], v[34:35]
	v_add_f64 v[34:35], v[20:21], v[62:63]
	;; [unrolled: 1-line block ×4, first 2 shown]
	s_waitcnt vmcnt(0)
	v_add_f64 v[70:71], v[70:71], -v[0:1]
	scratch_load_b64 v[0:1], off, off offset:420 ; 8-byte Folded Reload
	v_add_f64 v[30:31], v[22:23], v[30:31]
	v_add_f64 v[28:29], v[22:23], v[28:29]
	;; [unrolled: 1-line block ×3, first 2 shown]
	v_fma_f64 v[20:21], v[157:158], s[6:7], v[52:53]
	v_fma_f64 v[52:53], v[157:158], s[48:49], v[52:53]
	s_delay_alu instid0(VALU_DEP_2) | instskip(SKIP_1) | instid1(VALU_DEP_3)
	v_add_f64 v[20:21], v[20:21], v[30:31]
	v_mul_f64 v[30:31], v[143:144], s[48:49]
	v_add_f64 v[28:29], v[52:53], v[28:29]
	s_delay_alu instid0(VALU_DEP_3) | instskip(NEXT) | instid1(VALU_DEP_3)
	v_add_f64 v[20:21], v[56:57], v[20:21]
	v_fma_f64 v[22:23], v[96:97], s[2:3], v[30:31]
	v_mul_f64 v[56:57], v[163:164], s[40:41]
	v_fma_f64 v[30:31], v[96:97], s[2:3], -v[30:31]
	v_add_f64 v[28:29], v[54:55], v[28:29]
	v_fma_f64 v[54:55], v[149:150], s[18:19], -v[94:95]
	v_add_f64 v[22:23], v[22:23], v[68:69]
	v_fma_f64 v[58:59], v[104:105], s[26:27], v[56:57]
	v_add_f64 v[30:31], v[30:31], v[66:67]
	v_fma_f64 v[52:53], v[104:105], s[26:27], -v[56:57]
	v_mul_f64 v[56:57], v[120:121], s[28:29]
	v_mul_f64 v[66:67], v[116:117], s[26:27]
	v_add_f64 v[22:23], v[58:59], v[22:23]
	v_mul_f64 v[58:59], v[120:121], s[4:5]
	v_add_f64 v[30:31], v[52:53], v[30:31]
	s_delay_alu instid0(VALU_DEP_2) | instskip(SKIP_1) | instid1(VALU_DEP_2)
	v_fma_f64 v[60:61], v[175:176], s[20:21], v[58:59]
	v_fma_f64 v[58:59], v[175:176], s[52:53], v[58:59]
	v_add_f64 v[20:21], v[60:61], v[20:21]
	v_mul_f64 v[60:61], v[173:174], s[52:53]
	s_delay_alu instid0(VALU_DEP_3) | instskip(SKIP_1) | instid1(VALU_DEP_3)
	v_add_f64 v[28:29], v[58:59], v[28:29]
	v_mul_f64 v[58:59], v[112:113], s[24:25]
	v_fma_f64 v[62:63], v[108:109], s[4:5], v[60:61]
	v_fma_f64 v[52:53], v[108:109], s[4:5], -v[60:61]
	v_mul_f64 v[60:61], v[100:101], s[18:19]
	s_delay_alu instid0(VALU_DEP_3) | instskip(SKIP_1) | instid1(VALU_DEP_4)
	v_add_f64 v[22:23], v[62:63], v[22:23]
	v_mul_f64 v[62:63], v[134:135], s[24:25]
	v_add_f64 v[30:31], v[52:53], v[30:31]
	s_delay_alu instid0(VALU_DEP_2) | instskip(SKIP_1) | instid1(VALU_DEP_2)
	v_fma_f64 v[68:69], v[179:180], s[56:57], v[62:63]
	v_fma_f64 v[62:63], v[179:180], s[38:39], v[62:63]
	v_add_f64 v[20:21], v[68:69], v[20:21]
	v_mul_f64 v[68:69], v[177:178], s[38:39]
	s_delay_alu instid0(VALU_DEP_3) | instskip(SKIP_1) | instid1(VALU_DEP_3)
	v_add_f64 v[28:29], v[62:63], v[28:29]
	v_mul_f64 v[62:63], v[130:131], s[22:23]
	v_fma_f64 v[84:85], v[116:117], s[24:25], v[68:69]
	v_fma_f64 v[52:53], v[116:117], s[24:25], -v[68:69]
	v_mul_f64 v[68:69], v[96:97], s[18:19]
	s_delay_alu instid0(VALU_DEP_3) | instskip(SKIP_1) | instid1(VALU_DEP_4)
	v_add_f64 v[22:23], v[84:85], v[22:23]
	v_mul_f64 v[84:85], v[145:146], s[10:11]
	v_add_f64 v[30:31], v[52:53], v[30:31]
	s_delay_alu instid0(VALU_DEP_2) | instskip(SKIP_1) | instid1(VALU_DEP_2)
	v_fma_f64 v[86:87], v[183:184], s[30:31], v[84:85]
	v_fma_f64 v[84:85], v[183:184], s[42:43], v[84:85]
	v_add_f64 v[20:21], v[86:87], v[20:21]
	v_mul_f64 v[86:87], v[181:182], s[42:43]
	s_delay_alu instid0(VALU_DEP_3) | instskip(SKIP_1) | instid1(VALU_DEP_3)
	v_add_f64 v[28:29], v[84:85], v[28:29]
	v_mul_f64 v[84:85], v[104:105], s[24:25]
	v_fma_f64 v[88:89], v[130:131], s[10:11], v[86:87]
	v_fma_f64 v[52:53], v[130:131], s[10:11], -v[86:87]
	s_delay_alu instid0(VALU_DEP_2) | instskip(SKIP_1) | instid1(VALU_DEP_3)
	v_add_f64 v[22:23], v[88:89], v[22:23]
	v_mul_f64 v[88:89], v[153:154], s[22:23]
	v_add_f64 v[30:31], v[52:53], v[30:31]
	s_delay_alu instid0(VALU_DEP_2) | instskip(SKIP_1) | instid1(VALU_DEP_2)
	v_fma_f64 v[90:91], v[191:192], s[46:47], v[88:89]
	v_fma_f64 v[88:89], v[191:192], s[36:37], v[88:89]
	v_add_f64 v[20:21], v[90:91], v[20:21]
	v_mul_f64 v[90:91], v[185:186], s[36:37]
	s_delay_alu instid0(VALU_DEP_3) | instskip(NEXT) | instid1(VALU_DEP_2)
	v_add_f64 v[28:29], v[88:89], v[28:29]
	v_fma_f64 v[92:93], v[138:139], s[22:23], v[90:91]
	v_fma_f64 v[52:53], v[138:139], s[22:23], -v[90:91]
	s_delay_alu instid0(VALU_DEP_2) | instskip(SKIP_1) | instid1(VALU_DEP_3)
	v_add_f64 v[92:93], v[92:93], v[22:23]
	v_fma_f64 v[22:23], v[209:210], s[34:35], v[114:115]
	v_add_f64 v[52:53], v[52:53], v[30:31]
	s_delay_alu instid0(VALU_DEP_2) | instskip(SKIP_1) | instid1(VALU_DEP_1)
	v_add_f64 v[22:23], v[22:23], v[20:21]
	v_fma_f64 v[20:21], v[149:150], s[18:19], v[94:95]
	v_add_f64 v[20:21], v[20:21], v[92:93]
	v_fma_f64 v[92:93], v[209:210], s[58:59], v[114:115]
	s_delay_alu instid0(VALU_DEP_1) | instskip(SKIP_4) | instid1(VALU_DEP_2)
	v_add_f64 v[30:31], v[92:93], v[28:29]
	v_add_f64 v[28:29], v[54:55], v[52:53]
	v_mul_f64 v[52:53], v[145:146], s[22:23]
	v_mul_f64 v[54:55], v[134:135], s[26:27]
	s_waitcnt vmcnt(0)
	v_add_f64 v[52:53], v[0:1], v[52:53]
	scratch_load_b64 v[0:1], off, off offset:380 ; 8-byte Folded Reload
	s_waitcnt vmcnt(0)
	v_add_f64 v[54:55], v[0:1], v[54:55]
	scratch_load_b64 v[0:1], off, off offset:356 ; 8-byte Folded Reload
	;; [unrolled: 3-line block ×5, first 2 shown]
	v_add_f64 v[32:33], v[60:61], v[32:33]
	v_mul_f64 v[60:61], v[108:109], s[28:29]
	s_delay_alu instid0(VALU_DEP_2) | instskip(SKIP_1) | instid1(VALU_DEP_2)
	v_add_f64 v[32:33], v[58:59], v[32:33]
	v_mul_f64 v[58:59], v[153:154], s[10:11]
	v_add_f64 v[32:33], v[56:57], v[32:33]
	v_mul_f64 v[56:57], v[138:139], s[10:11]
	s_delay_alu instid0(VALU_DEP_2) | instskip(SKIP_1) | instid1(VALU_DEP_2)
	v_add_f64 v[32:33], v[54:55], v[32:33]
	v_mul_f64 v[54:55], v[159:160], s[2:3]
	v_add_f64 v[32:33], v[52:53], v[32:33]
	v_mul_f64 v[52:53], v[149:150], s[2:3]
	s_waitcnt vmcnt(0)
	v_add_f64 v[62:63], v[62:63], -v[0:1]
	scratch_load_b64 v[0:1], off, off offset:340 ; 8-byte Folded Reload
	s_waitcnt vmcnt(0)
	v_add_f64 v[66:67], v[66:67], -v[0:1]
	scratch_load_b64 v[0:1], off, off offset:260 ; 8-byte Folded Reload
	;; [unrolled: 3-line block ×3, first 2 shown]
	v_add_f64 v[34:35], v[68:69], v[34:35]
	v_mul_f64 v[68:69], v[96:97], s[24:25]
	s_delay_alu instid0(VALU_DEP_1) | instskip(NEXT) | instid1(VALU_DEP_1)
	v_add_f64 v[68:69], v[68:69], -v[4:5]
	v_add_f64 v[38:39], v[68:69], v[38:39]
	v_mul_f64 v[68:69], v[96:97], s[28:29]
	s_delay_alu instid0(VALU_DEP_1) | instskip(NEXT) | instid1(VALU_DEP_1)
	v_add_f64 v[68:69], v[68:69], -v[2:3]
	v_add_f64 v[42:43], v[68:69], v[42:43]
	v_mul_f64 v[68:69], v[96:97], s[26:27]
	s_waitcnt vmcnt(0)
	v_add_f64 v[84:85], v[84:85], -v[0:1]
	scratch_load_b64 v[0:1], off, off offset:292 ; 8-byte Folded Reload
	v_add_f64 v[34:35], v[84:85], v[34:35]
	v_mul_f64 v[84:85], v[104:105], s[28:29]
	s_delay_alu instid0(VALU_DEP_1) | instskip(NEXT) | instid1(VALU_DEP_1)
	v_add_f64 v[84:85], v[84:85], -v[6:7]
	v_add_f64 v[38:39], v[84:85], v[38:39]
	v_mul_f64 v[84:85], v[104:105], s[22:23]
	s_delay_alu instid0(VALU_DEP_1) | instskip(NEXT) | instid1(VALU_DEP_1)
	v_add_f64 v[84:85], v[84:85], -v[8:9]
	v_add_f64 v[42:43], v[84:85], v[42:43]
	v_mul_f64 v[84:85], v[104:105], s[4:5]
	s_waitcnt vmcnt(0)
	v_add_f64 v[60:61], v[60:61], -v[0:1]
	scratch_load_b64 v[0:1], off, off offset:388 ; 8-byte Folded Reload
	v_add_f64 v[34:35], v[60:61], v[34:35]
	v_mul_f64 v[60:61], v[100:101], s[24:25]
	s_delay_alu instid0(VALU_DEP_2) | instskip(SKIP_1) | instid1(VALU_DEP_2)
	v_add_f64 v[34:35], v[66:67], v[34:35]
	v_mul_f64 v[66:67], v[116:117], s[4:5]
	v_add_f64 v[34:35], v[62:63], v[34:35]
	v_mul_f64 v[62:63], v[130:131], s[2:3]
	s_waitcnt vmcnt(0)
	v_add_f64 v[58:59], v[0:1], v[58:59]
	scratch_load_b64 v[0:1], off, off offset:348 ; 8-byte Folded Reload
	v_add_f64 v[32:33], v[58:59], v[32:33]
	v_mul_f64 v[58:59], v[112:113], s[28:29]
	s_waitcnt vmcnt(0)
	v_add_f64 v[56:57], v[56:57], -v[0:1]
	scratch_load_b64 v[0:1], off, off offset:412 ; 8-byte Folded Reload
	v_add_f64 v[56:57], v[56:57], v[34:35]
	s_waitcnt vmcnt(0)
	v_add_f64 v[54:55], v[0:1], v[54:55]
	scratch_load_b64 v[0:1], off, off offset:364 ; 8-byte Folded Reload
	v_add_f64 v[34:35], v[54:55], v[32:33]
	v_mul_f64 v[54:55], v[134:135], s[4:5]
	s_waitcnt vmcnt(0)
	v_add_f64 v[52:53], v[52:53], -v[0:1]
	scratch_load_b64 v[0:1], off, off offset:604 ; 8-byte Folded Reload
	v_add_f64 v[32:33], v[52:53], v[56:57]
	v_mul_f64 v[56:57], v[120:121], s[22:23]
	v_mul_f64 v[52:53], v[145:146], s[2:3]
	s_delay_alu instid0(VALU_DEP_1)
	v_add_f64 v[52:53], v[217:218], v[52:53]
	s_waitcnt vmcnt(0)
	v_add_f64 v[54:55], v[0:1], v[54:55]
	scratch_load_b64 v[0:1], off, off offset:484 ; 8-byte Folded Reload
	s_waitcnt vmcnt(0)
	v_add_f64 v[56:57], v[0:1], v[56:57]
	scratch_load_b64 v[0:1], off, off offset:428 ; 8-byte Folded Reload
	;; [unrolled: 3-line block ×4, first 2 shown]
	v_add_f64 v[36:37], v[60:61], v[36:37]
	v_mul_f64 v[60:61], v[108:109], s[22:23]
	s_delay_alu instid0(VALU_DEP_2) | instskip(SKIP_1) | instid1(VALU_DEP_2)
	v_add_f64 v[36:37], v[58:59], v[36:37]
	v_mul_f64 v[58:59], v[153:154], s[18:19]
	v_add_f64 v[36:37], v[56:57], v[36:37]
	v_mul_f64 v[56:57], v[138:139], s[18:19]
	s_delay_alu instid0(VALU_DEP_2) | instskip(SKIP_1) | instid1(VALU_DEP_2)
	v_add_f64 v[36:37], v[54:55], v[36:37]
	v_mul_f64 v[54:55], v[159:160], s[26:27]
	v_add_f64 v[36:37], v[52:53], v[36:37]
	v_mul_f64 v[52:53], v[149:150], s[26:27]
	s_waitcnt vmcnt(0)
	v_add_f64 v[62:63], v[62:63], -v[0:1]
	scratch_load_b64 v[0:1], off, off offset:476 ; 8-byte Folded Reload
	s_waitcnt vmcnt(0)
	v_add_f64 v[66:67], v[66:67], -v[0:1]
	scratch_load_b64 v[0:1], off, off offset:396 ; 8-byte Folded Reload
	s_waitcnt vmcnt(0)
	v_add_f64 v[60:61], v[60:61], -v[0:1]
	scratch_load_b64 v[0:1], off, off offset:524 ; 8-byte Folded Reload
	v_add_f64 v[38:39], v[60:61], v[38:39]
	v_mul_f64 v[60:61], v[100:101], s[28:29]
	s_delay_alu instid0(VALU_DEP_2) | instskip(SKIP_1) | instid1(VALU_DEP_2)
	v_add_f64 v[38:39], v[66:67], v[38:39]
	v_mul_f64 v[66:67], v[116:117], s[10:11]
	v_add_f64 v[38:39], v[62:63], v[38:39]
	v_mul_f64 v[62:63], v[130:131], s[26:27]
	s_waitcnt vmcnt(0)
	v_add_f64 v[58:59], v[0:1], v[58:59]
	scratch_load_b64 v[0:1], off, off offset:468 ; 8-byte Folded Reload
	v_add_f64 v[36:37], v[58:59], v[36:37]
	v_mul_f64 v[58:59], v[112:113], s[22:23]
	s_waitcnt vmcnt(0)
	v_add_f64 v[56:57], v[56:57], -v[0:1]
	scratch_load_b64 v[0:1], off, off offset:516 ; 8-byte Folded Reload
	v_add_f64 v[56:57], v[56:57], v[38:39]
	s_waitcnt vmcnt(0)
	v_add_f64 v[54:55], v[0:1], v[54:55]
	scratch_load_b64 v[0:1], off, off offset:452 ; 8-byte Folded Reload
	v_add_f64 v[38:39], v[54:55], v[36:37]
	v_mul_f64 v[54:55], v[134:135], s[10:11]
	s_delay_alu instid0(VALU_DEP_1)
	v_add_f64 v[54:55], v[207:208], v[54:55]
	s_waitcnt vmcnt(0)
	v_add_f64 v[52:53], v[52:53], -v[0:1]
	scratch_load_b64 v[0:1], off, off offset:620 ; 8-byte Folded Reload
	v_add_f64 v[36:37], v[52:53], v[56:57]
	v_mul_f64 v[56:57], v[120:121], s[2:3]
	v_mul_f64 v[52:53], v[145:146], s[26:27]
	s_delay_alu instid0(VALU_DEP_1) | instskip(SKIP_1) | instid1(VALU_DEP_3)
	v_add_f64 v[52:53], v[233:234], v[52:53]
	s_waitcnt vmcnt(0)
	v_add_f64 v[56:57], v[0:1], v[56:57]
	scratch_load_b64 v[0:1], off, off offset:540 ; 8-byte Folded Reload
	s_waitcnt vmcnt(0)
	v_add_f64 v[58:59], v[0:1], v[58:59]
	scratch_load_b64 v[0:1], off, off offset:460 ; 8-byte Folded Reload
	;; [unrolled: 3-line block ×3, first 2 shown]
	v_add_f64 v[40:41], v[60:61], v[40:41]
	v_mul_f64 v[60:61], v[108:109], s[2:3]
	s_delay_alu instid0(VALU_DEP_2) | instskip(SKIP_1) | instid1(VALU_DEP_2)
	v_add_f64 v[40:41], v[58:59], v[40:41]
	v_mul_f64 v[58:59], v[153:154], s[24:25]
	v_add_f64 v[40:41], v[56:57], v[40:41]
	v_mul_f64 v[56:57], v[138:139], s[24:25]
	s_delay_alu instid0(VALU_DEP_2) | instskip(SKIP_1) | instid1(VALU_DEP_2)
	v_add_f64 v[40:41], v[54:55], v[40:41]
	v_mul_f64 v[54:55], v[159:160], s[4:5]
	v_add_f64 v[40:41], v[52:53], v[40:41]
	v_mul_f64 v[52:53], v[149:150], s[4:5]
	s_waitcnt vmcnt(0)
	v_add_f64 v[62:63], v[62:63], -v[0:1]
	scratch_load_b64 v[0:1], off, off offset:564 ; 8-byte Folded Reload
	s_waitcnt vmcnt(0)
	v_add_f64 v[66:67], v[66:67], -v[0:1]
	scratch_load_b64 v[0:1], off, off offset:444 ; 8-byte Folded Reload
	;; [unrolled: 3-line block ×3, first 2 shown]
	v_add_f64 v[42:43], v[60:61], v[42:43]
	v_mul_f64 v[60:61], v[100:101], s[26:27]
	s_delay_alu instid0(VALU_DEP_2) | instskip(SKIP_1) | instid1(VALU_DEP_2)
	v_add_f64 v[42:43], v[66:67], v[42:43]
	v_mul_f64 v[66:67], v[116:117], s[28:29]
	v_add_f64 v[42:43], v[62:63], v[42:43]
	v_mul_f64 v[62:63], v[130:131], s[18:19]
	s_delay_alu instid0(VALU_DEP_3) | instskip(NEXT) | instid1(VALU_DEP_2)
	v_add_f64 v[66:67], v[66:67], -v[199:200]
	v_add_f64 v[62:63], v[62:63], -v[227:228]
	s_waitcnt vmcnt(0)
	v_add_f64 v[58:59], v[0:1], v[58:59]
	scratch_load_b64 v[0:1], off, off offset:556 ; 8-byte Folded Reload
	v_add_f64 v[40:41], v[58:59], v[40:41]
	v_mul_f64 v[58:59], v[112:113], s[4:5]
	s_waitcnt vmcnt(0)
	v_add_f64 v[56:57], v[56:57], -v[0:1]
	scratch_load_b64 v[0:1], off, off offset:612 ; 8-byte Folded Reload
	v_add_f64 v[56:57], v[56:57], v[42:43]
	s_waitcnt vmcnt(0)
	v_add_f64 v[54:55], v[0:1], v[54:55]
	scratch_load_b64 v[0:1], off, off offset:532 ; 8-byte Folded Reload
	v_add_f64 v[42:43], v[54:55], v[40:41]
	v_mul_f64 v[54:55], v[134:135], s[28:29]
	s_delay_alu instid0(VALU_DEP_1)
	v_add_f64 v[54:55], v[241:242], v[54:55]
	s_waitcnt vmcnt(0)
	v_add_f64 v[52:53], v[52:53], -v[0:1]
	scratch_load_b64 v[0:1], off, off offset:644 ; 8-byte Folded Reload
	v_add_f64 v[40:41], v[52:53], v[56:57]
	v_mul_f64 v[56:57], v[120:121], s[10:11]
	v_mul_f64 v[52:53], v[145:146], s[18:19]
	s_delay_alu instid0(VALU_DEP_2) | instskip(NEXT) | instid1(VALU_DEP_2)
	v_add_f64 v[56:57], v[215:216], v[56:57]
	v_add_f64 v[52:53], v[102:103], v[52:53]
	s_waitcnt vmcnt(0)
	v_add_f64 v[58:59], v[0:1], v[58:59]
	scratch_load_b64 v[0:1], off, off offset:548 ; 8-byte Folded Reload
	s_waitcnt vmcnt(0)
	v_add_f64 v[60:61], v[0:1], v[60:61]
	scratch_load_b64 v[0:1], off, off offset:436 ; 8-byte Folded Reload
	v_add_f64 v[60:61], v[60:61], v[80:81]
	v_mul_f64 v[80:81], v[108:109], s[10:11]
	s_delay_alu instid0(VALU_DEP_2) | instskip(NEXT) | instid1(VALU_DEP_1)
	v_add_f64 v[58:59], v[58:59], v[60:61]
	v_add_f64 v[56:57], v[56:57], v[58:59]
	s_delay_alu instid0(VALU_DEP_1) | instskip(NEXT) | instid1(VALU_DEP_1)
	v_add_f64 v[54:55], v[54:55], v[56:57]
	v_add_f64 v[52:53], v[52:53], v[54:55]
	s_waitcnt vmcnt(0)
	v_add_f64 v[68:69], v[68:69], -v[0:1]
	scratch_load_b64 v[0:1], off, off offset:492 ; 8-byte Folded Reload
	v_add_f64 v[68:69], v[68:69], v[82:83]
	v_mul_f64 v[82:83], v[96:97], s[22:23]
	s_waitcnt vmcnt(0)
	v_add_f64 v[84:85], v[84:85], -v[0:1]
	scratch_load_b64 v[0:1], off, off offset:508 ; 8-byte Folded Reload
	v_add_f64 v[60:61], v[84:85], v[68:69]
	v_mul_f64 v[84:85], v[104:105], s[2:3]
	v_mul_f64 v[68:69], v[153:154], s[2:3]
	s_delay_alu instid0(VALU_DEP_1) | instskip(NEXT) | instid1(VALU_DEP_1)
	v_add_f64 v[68:69], v[219:220], v[68:69]
	v_add_f64 v[52:53], v[68:69], v[52:53]
	v_mul_f64 v[68:69], v[130:131], s[4:5]
	s_delay_alu instid0(VALU_DEP_1)
	v_add_f64 v[68:69], v[68:69], -v[247:248]
	s_waitcnt vmcnt(0)
	v_add_f64 v[80:81], v[80:81], -v[0:1]
	scratch_load_b64 v[0:1], off, off offset:660 ; 8-byte Folded Reload
	v_add_f64 v[58:59], v[80:81], v[60:61]
	v_mul_f64 v[60:61], v[138:139], s[2:3]
	v_mul_f64 v[80:81], v[116:117], s[18:19]
	s_delay_alu instid0(VALU_DEP_3) | instskip(SKIP_2) | instid1(VALU_DEP_4)
	v_add_f64 v[56:57], v[66:67], v[58:59]
	v_mul_f64 v[66:67], v[100:101], s[22:23]
	v_mul_f64 v[58:59], v[159:160], s[24:25]
	v_add_f64 v[80:81], v[80:81], -v[225:226]
	s_delay_alu instid0(VALU_DEP_4) | instskip(SKIP_1) | instid1(VALU_DEP_4)
	v_add_f64 v[54:55], v[62:63], v[56:57]
	v_mul_f64 v[56:57], v[149:150], s[24:25]
	v_add_f64 v[58:59], v[211:212], v[58:59]
	v_mul_f64 v[62:63], v[112:113], s[2:3]
	s_delay_alu instid0(VALU_DEP_1)
	v_add_f64 v[62:63], v[223:224], v[62:63]
	s_waitcnt vmcnt(0)
	v_add_f64 v[60:61], v[60:61], -v[0:1]
	scratch_load_b64 v[0:1], off, off offset:636 ; 8-byte Folded Reload
	v_add_f64 v[60:61], v[60:61], v[54:55]
	v_add_f64 v[54:55], v[58:59], v[52:53]
	v_mul_f64 v[58:59], v[134:135], s[18:19]
	s_delay_alu instid0(VALU_DEP_1)
	v_add_f64 v[58:59], v[253:254], v[58:59]
	s_waitcnt vmcnt(0)
	v_add_f64 v[56:57], v[56:57], -v[0:1]
	scratch_load_b64 v[0:1], off, off offset:652 ; 8-byte Folded Reload
	v_add_f64 v[52:53], v[56:57], v[60:61]
	v_mul_f64 v[60:61], v[120:121], s[26:27]
	v_mul_f64 v[56:57], v[145:146], s[4:5]
	s_delay_alu instid0(VALU_DEP_2) | instskip(NEXT) | instid1(VALU_DEP_2)
	v_add_f64 v[60:61], v[243:244], v[60:61]
	v_add_f64 v[56:57], v[118:119], v[56:57]
	s_waitcnt vmcnt(0)
	v_add_f64 v[66:67], v[0:1], v[66:67]
	scratch_load_b64 v[0:1], off, off offset:500 ; 8-byte Folded Reload
	v_add_f64 v[66:67], v[66:67], v[76:77]
	s_delay_alu instid0(VALU_DEP_1) | instskip(NEXT) | instid1(VALU_DEP_1)
	v_add_f64 v[62:63], v[62:63], v[66:67]
	v_add_f64 v[60:61], v[60:61], v[62:63]
	s_delay_alu instid0(VALU_DEP_1) | instskip(NEXT) | instid1(VALU_DEP_1)
	v_add_f64 v[58:59], v[58:59], v[60:61]
	v_add_f64 v[56:57], v[56:57], v[58:59]
	s_waitcnt vmcnt(0)
	v_add_f64 v[82:83], v[82:83], -v[0:1]
	scratch_load_b64 v[0:1], off, off offset:588 ; 8-byte Folded Reload
	v_add_f64 v[76:77], v[82:83], v[78:79]
	v_mul_f64 v[78:79], v[108:109], s[26:27]
	v_mul_f64 v[82:83], v[96:97], s[10:11]
	s_waitcnt vmcnt(0)
	v_add_f64 v[84:85], v[84:85], -v[0:1]
	scratch_load_b64 v[0:1], off, off offset:596 ; 8-byte Folded Reload
	v_add_f64 v[66:67], v[84:85], v[76:77]
	v_mul_f64 v[76:77], v[153:154], s[28:29]
	v_mul_f64 v[84:85], v[104:105], s[18:19]
	s_delay_alu instid0(VALU_DEP_2) | instskip(NEXT) | instid1(VALU_DEP_2)
	v_add_f64 v[76:77], v[235:236], v[76:77]
	v_add_f64 v[84:85], v[84:85], -v[197:198]
	s_delay_alu instid0(VALU_DEP_2) | instskip(SKIP_1) | instid1(VALU_DEP_1)
	v_add_f64 v[56:57], v[76:77], v[56:57]
	v_mul_f64 v[76:77], v[100:101], s[10:11]
	v_add_f64 v[76:77], v[213:214], v[76:77]
	s_delay_alu instid0(VALU_DEP_1) | instskip(SKIP_1) | instid1(VALU_DEP_1)
	v_add_f64 v[72:73], v[76:77], v[72:73]
	v_mul_f64 v[76:77], v[108:109], s[24:25]
	v_add_f64 v[76:77], v[76:77], -v[201:202]
	s_waitcnt vmcnt(0)
	v_add_f64 v[78:79], v[78:79], -v[0:1]
	scratch_load_b64 v[0:1], off, off offset:580 ; 8-byte Folded Reload
	v_add_f64 v[62:63], v[78:79], v[66:67]
	v_mul_f64 v[66:67], v[138:139], s[28:29]
	v_mul_f64 v[78:79], v[130:131], s[28:29]
	s_delay_alu instid0(VALU_DEP_3) | instskip(NEXT) | instid1(VALU_DEP_3)
	v_add_f64 v[60:61], v[80:81], v[62:63]
	v_add_f64 v[66:67], v[66:67], -v[221:222]
	v_mul_f64 v[62:63], v[159:160], s[10:11]
	v_mul_f64 v[80:81], v[116:117], s[2:3]
	v_add_f64 v[78:79], v[78:79], -v[106:107]
	v_add_f64 v[58:59], v[68:69], v[60:61]
	v_mul_f64 v[60:61], v[149:150], s[10:11]
	v_add_f64 v[62:63], v[231:232], v[62:63]
	v_mul_f64 v[68:69], v[112:113], s[18:19]
	v_add_f64 v[80:81], v[80:81], -v[245:246]
	v_add_f64 v[66:67], v[66:67], v[58:59]
	v_add_f64 v[60:61], v[60:61], -v[205:206]
	v_add_f64 v[58:59], v[62:63], v[56:57]
	v_add_f64 v[68:69], v[239:240], v[68:69]
	v_mul_f64 v[62:63], v[134:135], s[2:3]
	s_delay_alu instid0(VALU_DEP_4) | instskip(SKIP_1) | instid1(VALU_DEP_4)
	v_add_f64 v[56:57], v[60:61], v[66:67]
	v_mul_f64 v[66:67], v[120:121], s[24:25]
	v_add_f64 v[68:69], v[68:69], v[72:73]
	v_mul_f64 v[60:61], v[145:146], s[28:29]
	v_add_f64 v[62:63], v[110:111], v[62:63]
	s_delay_alu instid0(VALU_DEP_4) | instskip(NEXT) | instid1(VALU_DEP_3)
	v_add_f64 v[66:67], v[251:252], v[66:67]
	v_add_f64 v[60:61], v[122:123], v[60:61]
	s_delay_alu instid0(VALU_DEP_2) | instskip(NEXT) | instid1(VALU_DEP_1)
	v_add_f64 v[66:67], v[66:67], v[68:69]
	v_add_f64 v[62:63], v[62:63], v[66:67]
	s_waitcnt vmcnt(0)
	v_add_f64 v[82:83], v[82:83], -v[0:1]
	scratch_load_b64 v[0:1], off, off offset:204 ; 8-byte Folded Reload
	v_add_f64 v[60:61], v[60:61], v[62:63]
	v_add_f64 v[74:75], v[82:83], v[74:75]
	v_mul_f64 v[82:83], v[104:105], s[10:11]
	s_delay_alu instid0(VALU_DEP_2) | instskip(SKIP_2) | instid1(VALU_DEP_3)
	v_add_f64 v[72:73], v[84:85], v[74:75]
	v_mul_f64 v[74:75], v[153:154], s[4:5]
	v_mul_f64 v[84:85], v[108:109], s[18:19]
	v_add_f64 v[68:69], v[76:77], v[72:73]
	v_mul_f64 v[72:73], v[138:139], s[4:5]
	s_delay_alu instid0(VALU_DEP_4) | instskip(SKIP_1) | instid1(VALU_DEP_4)
	v_add_f64 v[74:75], v[98:99], v[74:75]
	v_mul_f64 v[76:77], v[100:101], s[4:5]
	v_add_f64 v[66:67], v[80:81], v[68:69]
	s_delay_alu instid0(VALU_DEP_4)
	v_add_f64 v[72:73], v[72:73], -v[237:238]
	v_mul_f64 v[68:69], v[159:160], s[22:23]
	v_add_f64 v[60:61], v[74:75], v[60:61]
	v_mul_f64 v[74:75], v[112:113], s[10:11]
	v_mul_f64 v[80:81], v[96:97], s[4:5]
	v_add_f64 v[62:63], v[78:79], v[66:67]
	v_mul_f64 v[66:67], v[149:150], s[22:23]
	v_add_f64 v[68:69], v[249:250], v[68:69]
	v_mul_f64 v[78:79], v[130:131], s[24:25]
	s_delay_alu instid0(VALU_DEP_4) | instskip(NEXT) | instid1(VALU_DEP_4)
	v_add_f64 v[72:73], v[72:73], v[62:63]
	v_add_f64 v[66:67], v[66:67], -v[229:230]
	s_delay_alu instid0(VALU_DEP_4) | instskip(SKIP_1) | instid1(VALU_DEP_3)
	v_add_f64 v[62:63], v[68:69], v[60:61]
	v_mul_f64 v[68:69], v[134:135], s[22:23]
	v_add_f64 v[60:61], v[66:67], v[72:73]
	v_mul_f64 v[66:67], v[145:146], s[24:25]
	v_mul_f64 v[72:73], v[120:121], s[18:19]
	s_waitcnt vmcnt(0)
	s_delay_alu instid0(VALU_DEP_2)
	v_add_f64 v[66:67], v[0:1], v[66:67]
	scratch_load_b64 v[0:1], off, off offset:188 ; 8-byte Folded Reload
	s_waitcnt vmcnt(0)
	v_add_f64 v[68:69], v[0:1], v[68:69]
	scratch_load_b64 v[0:1], off, off offset:140 ; 8-byte Folded Reload
	s_waitcnt vmcnt(0)
	;; [unrolled: 3-line block ×4, first 2 shown]
	v_add_f64 v[76:77], v[0:1], v[76:77]
	scratch_load_b64 v[0:1], off, off offset:172 ; 8-byte Folded Reload
	v_add_f64 v[64:65], v[76:77], v[64:65]
	v_mul_f64 v[76:77], v[116:117], s[22:23]
	s_delay_alu instid0(VALU_DEP_2) | instskip(SKIP_1) | instid1(VALU_DEP_2)
	v_add_f64 v[64:65], v[74:75], v[64:65]
	v_mul_f64 v[74:75], v[153:154], s[26:27]
	v_add_f64 v[64:65], v[72:73], v[64:65]
	v_mul_f64 v[72:73], v[138:139], s[26:27]
	s_delay_alu instid0(VALU_DEP_2) | instskip(NEXT) | instid1(VALU_DEP_1)
	v_add_f64 v[64:65], v[68:69], v[64:65]
	v_add_f64 v[64:65], v[66:67], v[64:65]
	s_waitcnt vmcnt(0)
	v_add_f64 v[78:79], v[78:79], -v[0:1]
	scratch_load_b64 v[0:1], off, off offset:52 ; 8-byte Folded Reload
	s_waitcnt vmcnt(0)
	v_add_f64 v[80:81], v[80:81], -v[0:1]
	scratch_load_b64 v[0:1], off, off offset:76 ; 8-byte Folded Reload
	v_add_f64 v[70:71], v[80:81], v[70:71]
	s_waitcnt vmcnt(0)
	v_add_f64 v[82:83], v[82:83], -v[0:1]
	scratch_load_b64 v[0:1], off, off offset:92 ; 8-byte Folded Reload
	v_add_f64 v[70:71], v[82:83], v[70:71]
	;; [unrolled: 4-line block ×4, first 2 shown]
	v_mul_f64 v[70:71], v[159:160], s[28:29]
	s_delay_alu instid0(VALU_DEP_2)
	v_add_f64 v[66:67], v[78:79], v[68:69]
	v_mul_f64 v[68:69], v[149:150], s[28:29]
	s_waitcnt vmcnt(0)
	v_add_f64 v[74:75], v[0:1], v[74:75]
	scratch_load_b64 v[0:1], off, off offset:196 ; 8-byte Folded Reload
	v_add_f64 v[64:65], v[74:75], v[64:65]
	s_waitcnt vmcnt(0)
	v_add_f64 v[72:73], v[72:73], -v[0:1]
	scratch_load_b64 v[0:1], off, off offset:228 ; 8-byte Folded Reload
	v_add_f64 v[72:73], v[72:73], v[66:67]
	s_waitcnt vmcnt(0)
	v_add_f64 v[70:71], v[0:1], v[70:71]
	scratch_load_b64 v[0:1], off, off offset:212 ; 8-byte Folded Reload
	v_add_f64 v[66:67], v[70:71], v[64:65]
	s_waitcnt vmcnt(0)
	v_add_f64 v[68:69], v[68:69], -v[0:1]
	v_mul_lo_u16 v0, v255, 17
	s_delay_alu instid0(VALU_DEP_1) | instskip(NEXT) | instid1(VALU_DEP_1)
	v_and_b32_e32 v0, 0xffff, v0
	v_add_lshl_u32 v0, v193, v0, 4
	ds_store_b128 v0, v[32:35] offset:32
	ds_store_b128 v0, v[44:47] offset:160
	;; [unrolled: 1-line block ×5, first 2 shown]
	scratch_load_b128 v[1:4], off, off offset:36 ; 16-byte Folded Reload
	v_add_f64 v[64:65], v[68:69], v[72:73]
	s_waitcnt vmcnt(0)
	ds_store_b128 v0, v[1:4] offset:224
	scratch_load_b128 v[1:4], off, off offset:20 ; 16-byte Folded Reload
	s_waitcnt vmcnt(0)
	ds_store_b128 v0, v[1:4] offset:240
	ds_store_b128 v0, v[36:39] offset:48
	;; [unrolled: 1-line block ×9, first 2 shown]
	ds_store_b128 v0, v[24:27]
	scratch_load_b128 v[1:4], off, off offset:4 ; 16-byte Folded Reload
	s_waitcnt vmcnt(0)
	ds_store_b128 v0, v[1:4] offset:256
.LBB0_7:
	s_or_b32 exec_lo, exec_lo, s0
	v_add_lshl_u32 v211, v193, v255, 4
	s_waitcnt lgkmcnt(0)
	s_waitcnt_vscnt null, 0x0
	s_barrier
	buffer_gl0_inv
	v_cmp_gt_u16_e64 s0, 17, v255
	ds_load_b128 v[56:59], v211
	ds_load_b128 v[60:63], v211 offset:544
	ds_load_b128 v[72:75], v211 offset:3536
	;; [unrolled: 1-line block ×9, first 2 shown]
	s_and_saveexec_b32 s1, s0
	s_cbranch_execz .LBB0_9
; %bb.8:
	ds_load_b128 v[44:47], v211 offset:2720
	ds_load_b128 v[48:51], v211 offset:5712
.LBB0_9:
	s_or_b32 exec_lo, exec_lo, s1
	v_add_nc_u16 v0, v255, 34
	v_add_nc_u16 v1, v255, 0x44
	;; [unrolled: 1-line block ×4, first 2 shown]
	v_add_co_u32 v8, s1, 0xffffffef, v255
	v_and_b32_e32 v4, 0xff, v0
	v_and_b32_e32 v5, 0xff, v1
	;; [unrolled: 1-line block ×4, first 2 shown]
	v_add_co_ci_u32_e64 v9, null, 0, -1, s1
	v_mul_lo_u16 v4, 0xf1, v4
	v_mul_lo_u16 v5, 0xf1, v5
	;; [unrolled: 1-line block ×4, first 2 shown]
	v_cndmask_b32_e64 v97, v9, 0, s0
	v_lshrrev_b16 v4, 12, v4
	v_lshrrev_b16 v5, 12, v5
	;; [unrolled: 1-line block ×4, first 2 shown]
	v_cndmask_b32_e64 v96, v8, v255, s0
	v_mul_lo_u16 v9, v4, 17
	v_mul_lo_u16 v10, v5, 17
	;; [unrolled: 1-line block ×3, first 2 shown]
	v_and_b32_e32 v5, 0xffff, v5
	v_lshlrev_b64 v[20:21], 4, v[96:97]
	v_sub_nc_u16 v0, v0, v9
	v_mul_lo_u16 v9, v7, 17
	v_sub_nc_u16 v1, v1, v10
	v_sub_nc_u16 v2, v2, v8
	v_and_b32_e32 v6, 0xffff, v6
	v_and_b32_e32 v10, 0xff, v0
	v_sub_nc_u16 v3, v3, v9
	v_and_b32_e32 v1, 0xff, v1
	v_add_co_u32 v20, s1, s8, v20
	v_and_b32_e32 v2, 0xff, v2
	v_add_co_ci_u32_e64 v21, s1, s9, v21, s1
	v_lshlrev_b32_e32 v8, 4, v10
	v_and_b32_e32 v3, 0xff, v3
	v_lshlrev_b32_e32 v9, 4, v1
	v_lshlrev_b32_e32 v10, 4, v2
	s_clause 0x1
	global_load_b128 v[28:31], v[20:21], off
	global_load_b128 v[32:35], v8, s[8:9]
	v_lshlrev_b32_e32 v8, 4, v3
	s_clause 0x1
	global_load_b128 v[36:39], v9, s[8:9]
	global_load_b128 v[24:27], v10, s[8:9]
	v_add_nc_u16 v9, v255, 0xaa
	v_cmp_lt_u16_e64 s1, 16, v255
	s_load_b128 s[4:7], s[16:17], 0x0
	global_load_b128 v[40:43], v8, s[8:9]
	v_and_b32_e32 v7, 0xffff, v7
	v_and_b32_e32 v8, 0xff, v9
	v_mad_u16 v0, v4, 34, v0
	v_mul_u32_u24_e32 v4, 34, v5
	v_mul_u32_u24_e32 v5, 34, v6
	;; [unrolled: 1-line block ×3, first 2 shown]
	v_mul_lo_u16 v8, 0xf1, v8
	v_and_b32_e32 v0, 0xff, v0
	v_add_nc_u32_e32 v1, v4, v1
	v_add_nc_u32_e32 v2, v5, v2
	;; [unrolled: 1-line block ×3, first 2 shown]
	v_lshrrev_b16 v8, 12, v8
	v_add_lshl_u32 v5, v193, v0, 4
	v_add_lshl_u32 v4, v193, v1, 4
	;; [unrolled: 1-line block ×4, first 2 shown]
	v_mul_lo_u16 v8, v8, 17
	s_delay_alu instid0(VALU_DEP_1) | instskip(NEXT) | instid1(VALU_DEP_1)
	v_sub_nc_u16 v8, v9, v8
	v_and_b32_e32 v8, 0xff, v8
	scratch_store_b32 off, v8, off offset:52 ; 4-byte Folded Spill
	v_lshlrev_b32_e32 v8, 4, v8
	global_load_b128 v[20:23], v8, s[8:9]
	v_cndmask_b32_e64 v8, 0, 34, s1
	s_delay_alu instid0(VALU_DEP_1) | instskip(NEXT) | instid1(VALU_DEP_1)
	v_add_nc_u32_e32 v8, v96, v8
	v_add_lshl_u32 v7, v193, v8, 4
	s_waitcnt vmcnt(5) lgkmcnt(0)
	v_mul_f64 v[92:93], v[90:91], v[30:31]
	v_mul_f64 v[94:95], v[88:89], v[30:31]
	s_waitcnt vmcnt(4)
	v_mul_f64 v[97:98], v[74:75], v[34:35]
	s_waitcnt vmcnt(2)
	scratch_store_b128 off, v[24:27], off offset:60 ; 16-byte Folded Spill
	v_mul_f64 v[105:106], v[86:87], v[26:27]
	v_mul_f64 v[107:108], v[84:85], v[26:27]
	;; [unrolled: 1-line block ×5, first 2 shown]
	s_waitcnt vmcnt(1)
	v_mul_f64 v[109:110], v[82:83], v[42:43]
	v_mul_f64 v[111:112], v[80:81], v[42:43]
	s_clause 0x3
	scratch_store_b128 off, v[28:31], off offset:76
	scratch_store_b128 off, v[32:35], off offset:92
	;; [unrolled: 1-line block ×4, first 2 shown]
	v_fma_f64 v[88:89], v[88:89], v[28:29], -v[92:93]
	v_fma_f64 v[90:91], v[90:91], v[28:29], v[94:95]
	v_fma_f64 v[92:93], v[72:73], v[32:33], -v[97:98]
	v_fma_f64 v[84:85], v[84:85], v[24:25], -v[105:106]
	v_fma_f64 v[86:87], v[86:87], v[24:25], v[107:108]
	v_fma_f64 v[94:95], v[74:75], v[32:33], v[99:100]
	s_waitcnt vmcnt(0)
	v_mul_f64 v[105:106], v[50:51], v[22:23]
	v_mul_f64 v[107:108], v[48:49], v[22:23]
	v_fma_f64 v[97:98], v[76:77], v[36:37], -v[101:102]
	v_fma_f64 v[99:100], v[78:79], v[36:37], v[103:104]
	v_fma_f64 v[101:102], v[80:81], v[40:41], -v[109:110]
	v_fma_f64 v[103:104], v[82:83], v[40:41], v[111:112]
	scratch_store_b128 off, v[20:23], off offset:316 ; 16-byte Folded Spill
	s_waitcnt_vscnt null, 0x0
	s_barrier
	buffer_gl0_inv
	scratch_store_b32 off, v7, off offset:220 ; 4-byte Folded Spill
	v_add_f64 v[72:73], v[56:57], -v[88:89]
	v_add_f64 v[74:75], v[58:59], -v[90:91]
	;; [unrolled: 1-line block ×6, first 2 shown]
	v_fma_f64 v[84:85], v[48:49], v[20:21], -v[105:106]
	v_fma_f64 v[86:87], v[50:51], v[20:21], v[107:108]
	v_add_f64 v[80:81], v[68:69], -v[97:98]
	v_add_f64 v[82:83], v[70:71], -v[99:100]
	;; [unrolled: 1-line block ×4, first 2 shown]
	v_fma_f64 v[48:49], v[56:57], 2.0, -v[72:73]
	v_fma_f64 v[50:51], v[58:59], 2.0, -v[74:75]
	;; [unrolled: 1-line block ×6, first 2 shown]
	v_add_f64 v[84:85], v[44:45], -v[84:85]
	v_add_f64 v[86:87], v[46:47], -v[86:87]
	v_fma_f64 v[60:61], v[68:69], 2.0, -v[80:81]
	v_fma_f64 v[62:63], v[70:71], 2.0, -v[82:83]
	;; [unrolled: 1-line block ×4, first 2 shown]
	ds_store_b128 v7, v[48:51]
	ds_store_b128 v7, v[72:75] offset:272
	ds_store_b128 v5, v[56:59]
	scratch_store_b32 off, v5, off offset:212 ; 4-byte Folded Spill
	ds_store_b128 v5, v[76:79] offset:272
	ds_store_b128 v4, v[60:63]
	scratch_store_b32 off, v4, off offset:204 ; 4-byte Folded Spill
	;; [unrolled: 3-line block ×4, first 2 shown]
	ds_store_b128 v0, v[92:95] offset:272
	s_mov_b32 s1, exec_lo
	s_clause 0x2
	scratch_load_b128 v[25:28], off, off offset:4
	scratch_load_b128 v[29:32], off, off offset:20
	;; [unrolled: 1-line block ×3, first 2 shown]
	v_dual_mov_b32 v40, v14 :: v_dual_mov_b32 v39, v13
	v_dual_mov_b32 v38, v12 :: v_dual_mov_b32 v37, v11
	s_and_b32 s2, s1, s0
	s_delay_alu instid0(SALU_CYCLE_1)
	s_mov_b32 exec_lo, s2
	s_cbranch_execz .LBB0_11
; %bb.10:
	scratch_load_b32 v0, off, off offset:52 ; 4-byte Folded Reload
	v_fma_f64 v[46:47], v[46:47], 2.0, -v[86:87]
	v_fma_f64 v[44:45], v[44:45], 2.0, -v[84:85]
	s_waitcnt vmcnt(0)
	v_add_lshl_u32 v0, v193, v0, 4
	ds_store_b128 v0, v[44:47] offset:5440
	ds_store_b128 v0, v[84:87] offset:5712
.LBB0_11:
	s_or_b32 exec_lo, exec_lo, s1
	v_mad_u64_u32 v[76:77], null, 0xa0, v255, s[8:9]
	s_waitcnt vmcnt(0) lgkmcnt(0)
	s_waitcnt_vscnt null, 0x0
	s_barrier
	buffer_gl0_inv
	s_mov_b32 s26, 0xf8bb580b
	s_mov_b32 s20, 0x43842ef
	s_mov_b32 s24, 0xbb3a28a1
	s_clause 0x5
	global_load_b128 v[56:59], v[76:77], off offset:272
	global_load_b128 v[0:3], v[76:77], off offset:416
	global_load_b128 v[20:23], v[76:77], off offset:288
	global_load_b128 v[8:11], v[76:77], off offset:400
	global_load_b128 v[12:15], v[76:77], off offset:304
	global_load_b128 v[4:7], v[76:77], off offset:384
	ds_load_b128 v[68:71], v211 offset:544
	ds_load_b128 v[72:75], v211 offset:5440
	ds_load_b128 v[88:91], v211
	global_load_b128 v[41:44], v[76:77], off offset:320
	ds_load_b128 v[78:81], v211 offset:1088
	ds_load_b128 v[92:95], v211 offset:1632
	;; [unrolled: 1-line block ×3, first 2 shown]
	s_mov_b32 s28, 0xfd768dbf
	s_mov_b32 s27, 0xbfe14ced
	;; [unrolled: 1-line block ×23, first 2 shown]
	v_mov_b32_e32 v24, v255
	s_waitcnt vmcnt(6) lgkmcnt(5)
	v_mul_f64 v[100:101], v[68:69], v[58:59]
	s_waitcnt vmcnt(5) lgkmcnt(4)
	v_mul_f64 v[102:103], v[72:73], v[2:3]
	v_mul_f64 v[104:105], v[74:75], v[2:3]
	scratch_store_b128 off, v[0:3], off offset:140 ; 16-byte Folded Spill
	s_waitcnt vmcnt(4) lgkmcnt(2)
	v_mul_f64 v[106:107], v[80:81], v[22:23]
	s_waitcnt vmcnt(1)
	scratch_store_b128 off, v[4:7], off offset:156 ; 16-byte Folded Spill
	v_mul_f64 v[108:109], v[78:79], v[22:23]
	v_mul_f64 v[82:83], v[70:71], v[58:59]
	s_clause 0x2
	scratch_store_b128 off, v[20:23], off offset:244
	scratch_store_b128 off, v[8:11], off offset:172
	;; [unrolled: 1-line block ×3, first 2 shown]
	v_fma_f64 v[112:113], v[70:71], v[56:57], v[100:101]
	v_fma_f64 v[132:133], v[74:75], v[0:1], v[102:103]
	v_fma_f64 v[134:135], v[72:73], v[0:1], -v[104:105]
	global_load_b128 v[0:3], v[76:77], off offset:368
	v_fma_f64 v[136:137], v[78:79], v[20:21], -v[106:107]
	s_waitcnt lgkmcnt(1)
	v_mul_f64 v[78:79], v[94:95], v[14:15]
	ds_load_b128 v[100:103], v211 offset:4352
	s_waitcnt lgkmcnt(1)
	v_mul_f64 v[72:73], v[96:97], v[10:11]
	v_fma_f64 v[138:139], v[80:81], v[20:21], v[108:109]
	v_fma_f64 v[110:111], v[68:69], v[56:57], -v[82:83]
	v_mul_f64 v[74:75], v[98:99], v[10:11]
	v_add_f64 v[177:178], v[90:91], v[112:113]
	v_add_f64 v[126:127], v[112:113], v[132:133]
	v_fma_f64 v[145:146], v[92:93], v[12:13], -v[78:79]
	s_waitcnt lgkmcnt(0)
	v_mul_f64 v[78:79], v[100:101], v[6:7]
	v_fma_f64 v[141:142], v[98:99], v[8:9], v[72:73]
	v_mul_f64 v[72:73], v[92:93], v[14:15]
	v_add_f64 v[175:176], v[88:89], v[110:111]
	v_fma_f64 v[143:144], v[96:97], v[8:9], -v[74:75]
	v_fma_f64 v[149:150], v[102:103], v[4:5], v[78:79]
	v_mul_f64 v[78:79], v[102:103], v[6:7]
	v_fma_f64 v[147:148], v[94:95], v[12:13], v[72:73]
	v_add_f64 v[102:103], v[110:111], v[134:135]
	v_add_f64 v[185:186], v[136:137], v[143:144]
	v_add_f64 v[189:190], v[136:137], -v[143:144]
	v_add_f64 v[191:192], v[138:139], v[141:142]
	v_fma_f64 v[151:152], v[100:101], v[4:5], -v[78:79]
	ds_load_b128 v[78:81], v211 offset:2176
	ds_load_b128 v[92:95], v211 offset:2720
	s_waitcnt vmcnt(1)
	scratch_store_b128 off, v[41:44], off offset:260 ; 16-byte Folded Spill
	v_add_f64 v[201:202], v[147:148], v[149:150]
	v_mul_f64 v[193:194], v[189:190], s[22:23]
	v_mul_f64 v[232:233], v[189:190], s[24:25]
	;; [unrolled: 1-line block ×3, first 2 shown]
	s_waitcnt lgkmcnt(1)
	v_mul_f64 v[82:83], v[80:81], v[43:44]
	v_add_f64 v[195:196], v[145:146], v[151:152]
	v_add_f64 v[199:200], v[145:146], -v[151:152]
	s_delay_alu instid0(VALU_DEP_3) | instskip(SKIP_1) | instid1(VALU_DEP_3)
	v_fma_f64 v[153:154], v[78:79], v[41:42], -v[82:83]
	v_mul_f64 v[78:79], v[78:79], v[43:44]
	v_mul_f64 v[203:204], v[199:200], s[20:21]
	;; [unrolled: 1-line block ×4, first 2 shown]
	s_delay_alu instid0(VALU_DEP_4)
	v_fma_f64 v[155:156], v[80:81], v[41:42], v[78:79]
	ds_load_b128 v[78:81], v211 offset:3808
	ds_load_b128 v[96:99], v211 offset:3264
	v_fma_f64 v[6:7], v[201:202], s[18:19], v[4:5]
	v_fma_f64 v[4:5], v[201:202], s[18:19], -v[4:5]
	s_waitcnt vmcnt(0) lgkmcnt(1)
	v_mul_f64 v[82:83], v[80:81], v[2:3]
	scratch_store_b128 off, v[0:3], off offset:276 ; 16-byte Folded Spill
	v_fma_f64 v[157:158], v[78:79], v[0:1], -v[82:83]
	v_mul_f64 v[78:79], v[78:79], v[2:3]
	s_delay_alu instid0(VALU_DEP_2) | instskip(NEXT) | instid1(VALU_DEP_2)
	v_add_f64 v[207:208], v[153:154], v[157:158]
	v_fma_f64 v[159:160], v[80:81], v[0:1], v[78:79]
	s_clause 0x1
	global_load_b128 v[80:83], v[76:77], off offset:336
	global_load_b128 v[0:3], v[76:77], off offset:352
	v_add_f64 v[212:213], v[153:154], -v[157:158]
	v_add_f64 v[205:206], v[155:156], -v[159:160]
	v_add_f64 v[214:215], v[155:156], v[159:160]
	s_delay_alu instid0(VALU_DEP_3)
	v_mul_f64 v[216:217], v[212:213], s[24:25]
	v_mul_f64 v[240:241], v[212:213], s[34:35]
	;; [unrolled: 1-line block ×7, first 2 shown]
	v_fma_f64 v[22:23], v[214:215], s[18:19], v[20:21]
	s_delay_alu instid0(VALU_DEP_2)
	v_fma_f64 v[10:11], v[207:208], s[2:3], -v[8:9]
	v_fma_f64 v[8:9], v[207:208], s[2:3], v[8:9]
	s_waitcnt vmcnt(1)
	v_mul_f64 v[100:101], v[94:95], v[82:83]
	s_waitcnt vmcnt(0)
	scratch_store_b128 off, v[0:3], off offset:292 ; 16-byte Folded Spill
	v_fma_f64 v[161:162], v[92:93], v[80:81], -v[100:101]
	v_mul_f64 v[92:93], v[92:93], v[82:83]
	s_delay_alu instid0(VALU_DEP_1) | instskip(SKIP_2) | instid1(VALU_DEP_1)
	v_fma_f64 v[163:164], v[94:95], v[80:81], v[92:93]
	s_waitcnt lgkmcnt(0)
	v_mul_f64 v[92:93], v[98:99], v[2:3]
	v_fma_f64 v[165:166], v[96:97], v[0:1], -v[92:93]
	v_mul_f64 v[92:93], v[96:97], v[2:3]
	s_delay_alu instid0(VALU_DEP_2) | instskip(NEXT) | instid1(VALU_DEP_2)
	v_add_f64 v[220:221], v[161:162], v[165:166]
	v_fma_f64 v[167:168], v[98:99], v[0:1], v[92:93]
	v_add_f64 v[92:93], v[112:113], -v[132:133]
	v_add_f64 v[224:225], v[161:162], -v[165:166]
	s_delay_alu instid0(VALU_DEP_3) | instskip(NEXT) | instid1(VALU_DEP_3)
	v_add_f64 v[218:219], v[163:164], -v[167:168]
	v_mul_f64 v[94:95], v[92:93], s[26:27]
	v_mul_f64 v[96:97], v[92:93], s[22:23]
	;; [unrolled: 1-line block ×5, first 2 shown]
	v_add_f64 v[226:227], v[163:164], v[167:168]
	v_mul_f64 v[228:229], v[224:225], s[28:29]
	v_mul_f64 v[244:245], v[224:225], s[36:37]
	;; [unrolled: 1-line block ×3, first 2 shown]
	v_fma_f64 v[104:105], v[102:103], s[18:19], -v[94:95]
	v_fma_f64 v[94:95], v[102:103], s[18:19], v[94:95]
	v_fma_f64 v[106:107], v[102:103], s[10:11], -v[96:97]
	v_fma_f64 v[96:97], v[102:103], s[10:11], v[96:97]
	;; [unrolled: 2-line block ×5, first 2 shown]
	v_add_f64 v[102:103], v[110:111], -v[134:135]
	v_mul_f64 v[242:243], v[218:219], s[36:37]
	v_mul_f64 v[0:1], v[218:219], s[24:25]
	v_add_f64 v[179:180], v[88:89], v[104:105]
	v_add_f64 v[94:95], v[88:89], v[94:95]
	;; [unrolled: 1-line block ×7, first 2 shown]
	v_mul_f64 v[118:119], v[102:103], s[26:27]
	v_mul_f64 v[124:125], v[102:103], s[24:25]
	;; [unrolled: 1-line block ×5, first 2 shown]
	v_fma_f64 v[2:3], v[220:221], s[8:9], -v[0:1]
	v_fma_f64 v[0:1], v[220:221], s[8:9], v[0:1]
	v_fma_f64 v[173:174], v[126:127], s[18:19], -v[118:119]
	v_fma_f64 v[169:170], v[126:127], s[8:9], v[124:125]
	;; [unrolled: 2-line block ×3, first 2 shown]
	v_fma_f64 v[130:131], v[126:127], s[16:17], v[122:123]
	v_fma_f64 v[120:121], v[126:127], s[10:11], -v[120:121]
	v_fma_f64 v[122:123], v[126:127], s[16:17], -v[122:123]
	v_fma_f64 v[171:172], v[126:127], s[2:3], v[102:103]
	v_fma_f64 v[102:103], v[126:127], s[2:3], -v[102:103]
	v_fma_f64 v[118:119], v[126:127], s[18:19], v[118:119]
	v_add_f64 v[104:105], v[90:91], v[173:174]
	v_add_f64 v[173:174], v[90:91], v[124:125]
	v_add_f64 v[124:125], v[138:139], -v[141:142]
	v_add_f64 v[110:111], v[90:91], v[128:129]
	v_add_f64 v[126:127], v[90:91], v[130:131]
	;; [unrolled: 1-line block ×11, first 2 shown]
	v_mul_f64 v[187:188], v[124:125], s[22:23]
	v_mul_f64 v[230:231], v[124:125], s[24:25]
	;; [unrolled: 1-line block ×3, first 2 shown]
	s_mov_b32 s23, 0x3fed1bb4
	s_delay_alu instid0(SALU_CYCLE_1) | instskip(SKIP_2) | instid1(VALU_DEP_2)
	v_mul_f64 v[252:253], v[199:200], s[22:23]
	v_mul_f64 v[12:13], v[218:219], s[22:23]
	v_fma_f64 v[92:93], v[185:186], s[10:11], v[187:188]
	v_fma_f64 v[14:15], v[220:221], s[10:11], -v[12:13]
	s_delay_alu instid0(VALU_DEP_2) | instskip(SKIP_1) | instid1(VALU_DEP_1)
	v_add_f64 v[92:93], v[92:93], v[94:95]
	v_fma_f64 v[94:95], v[191:192], s[10:11], -v[193:194]
	v_add_f64 v[94:95], v[94:95], v[104:105]
	v_add_f64 v[104:105], v[147:148], -v[149:150]
	s_delay_alu instid0(VALU_DEP_1) | instskip(SKIP_2) | instid1(VALU_DEP_3)
	v_mul_f64 v[197:198], v[104:105], s[20:21]
	v_mul_f64 v[234:235], v[104:105], s[30:31]
	;; [unrolled: 1-line block ×3, first 2 shown]
	v_fma_f64 v[112:113], v[195:196], s[16:17], v[197:198]
	s_delay_alu instid0(VALU_DEP_1) | instskip(SKIP_1) | instid1(VALU_DEP_1)
	v_add_f64 v[92:93], v[112:113], v[92:93]
	v_fma_f64 v[112:113], v[201:202], s[16:17], -v[203:204]
	v_add_f64 v[94:95], v[112:113], v[94:95]
	v_fma_f64 v[112:113], v[207:208], s[8:9], v[209:210]
	s_delay_alu instid0(VALU_DEP_1) | instskip(SKIP_1) | instid1(VALU_DEP_1)
	v_add_f64 v[92:93], v[112:113], v[92:93]
	v_fma_f64 v[112:113], v[214:215], s[8:9], -v[216:217]
	v_add_f64 v[94:95], v[112:113], v[94:95]
	v_fma_f64 v[112:113], v[220:221], s[2:3], v[222:223]
	s_delay_alu instid0(VALU_DEP_1) | instskip(SKIP_1) | instid1(VALU_DEP_1)
	v_add_f64 v[92:93], v[112:113], v[92:93]
	v_fma_f64 v[112:113], v[226:227], s[2:3], -v[228:229]
	v_add_f64 v[94:95], v[112:113], v[94:95]
	v_fma_f64 v[112:113], v[185:186], s[8:9], -v[230:231]
	s_delay_alu instid0(VALU_DEP_1) | instskip(SKIP_1) | instid1(VALU_DEP_1)
	v_add_f64 v[106:107], v[112:113], v[106:107]
	v_fma_f64 v[112:113], v[191:192], s[8:9], v[232:233]
	v_add_f64 v[110:111], v[112:113], v[110:111]
	v_fma_f64 v[112:113], v[195:196], s[2:3], -v[234:235]
	s_delay_alu instid0(VALU_DEP_1) | instskip(SKIP_1) | instid1(VALU_DEP_1)
	v_add_f64 v[106:107], v[112:113], v[106:107]
	v_fma_f64 v[112:113], v[201:202], s[2:3], v[236:237]
	v_add_f64 v[110:111], v[112:113], v[110:111]
	;; [unrolled: 5-line block ×4, first 2 shown]
	v_fma_f64 v[106:107], v[185:186], s[2:3], -v[246:247]
	v_fma_f64 v[110:111], v[195:196], s[10:11], -v[250:251]
	s_delay_alu instid0(VALU_DEP_2) | instskip(SKIP_1) | instid1(VALU_DEP_2)
	v_add_f64 v[106:107], v[106:107], v[108:109]
	v_fma_f64 v[108:109], v[191:192], s[2:3], v[248:249]
	v_add_f64 v[106:107], v[110:111], v[106:107]
	s_delay_alu instid0(VALU_DEP_2) | instskip(SKIP_1) | instid1(VALU_DEP_1)
	v_add_f64 v[108:109], v[108:109], v[126:127]
	v_fma_f64 v[110:111], v[201:202], s[10:11], v[252:253]
	v_add_f64 v[108:109], v[110:111], v[108:109]
	v_fma_f64 v[110:111], v[207:208], s[18:19], -v[254:255]
	s_delay_alu instid0(VALU_DEP_2) | instskip(NEXT) | instid1(VALU_DEP_2)
	v_add_f64 v[22:23], v[22:23], v[108:109]
	v_add_f64 v[106:107], v[110:111], v[106:107]
	s_delay_alu instid0(VALU_DEP_1) | instskip(SKIP_1) | instid1(VALU_DEP_1)
	v_add_f64 v[116:117], v[2:3], v[106:107]
	v_mul_f64 v[2:3], v[224:225], s[24:25]
	v_fma_f64 v[106:107], v[226:227], s[8:9], v[2:3]
	v_fma_f64 v[2:3], v[226:227], s[8:9], -v[2:3]
	s_delay_alu instid0(VALU_DEP_2) | instskip(SKIP_1) | instid1(VALU_DEP_1)
	v_add_f64 v[118:119], v[106:107], v[22:23]
	v_mul_f64 v[22:23], v[124:125], s[34:35]
	v_fma_f64 v[106:107], v[185:186], s[16:17], -v[22:23]
	s_delay_alu instid0(VALU_DEP_1) | instskip(SKIP_1) | instid1(VALU_DEP_1)
	v_add_f64 v[106:107], v[106:107], v[128:129]
	v_mul_f64 v[128:129], v[189:190], s[34:35]
	v_fma_f64 v[108:109], v[191:192], s[16:17], v[128:129]
	s_delay_alu instid0(VALU_DEP_1) | instskip(SKIP_2) | instid1(VALU_DEP_3)
	v_add_f64 v[108:109], v[108:109], v[130:131]
	v_mul_f64 v[130:131], v[104:105], s[26:27]
	v_mul_f64 v[104:105], v[104:105], s[24:25]
	v_add_f64 v[6:7], v[6:7], v[108:109]
	s_delay_alu instid0(VALU_DEP_3) | instskip(NEXT) | instid1(VALU_DEP_1)
	v_fma_f64 v[110:111], v[195:196], s[18:19], -v[130:131]
	v_add_f64 v[106:107], v[110:111], v[106:107]
	s_delay_alu instid0(VALU_DEP_1) | instskip(SKIP_1) | instid1(VALU_DEP_2)
	v_add_f64 v[10:11], v[10:11], v[106:107]
	v_mul_f64 v[106:107], v[212:213], s[28:29]
	v_add_f64 v[120:121], v[14:15], v[10:11]
	s_delay_alu instid0(VALU_DEP_2) | instskip(SKIP_1) | instid1(VALU_DEP_2)
	v_fma_f64 v[108:109], v[214:215], s[2:3], v[106:107]
	v_mul_f64 v[10:11], v[224:225], s[22:23]
	v_add_f64 v[6:7], v[108:109], v[6:7]
	s_delay_alu instid0(VALU_DEP_2) | instskip(SKIP_3) | instid1(VALU_DEP_4)
	v_fma_f64 v[14:15], v[226:227], s[10:11], v[10:11]
	v_mul_f64 v[108:109], v[189:190], s[36:37]
	v_mul_f64 v[189:190], v[212:213], s[22:23]
	v_fma_f64 v[10:11], v[226:227], s[10:11], -v[10:11]
	v_add_f64 v[122:123], v[14:15], v[6:7]
	v_mul_f64 v[6:7], v[124:125], s[36:37]
	v_fma_f64 v[110:111], v[191:192], s[18:19], v[108:109]
	v_fma_f64 v[124:125], v[195:196], s[8:9], -v[104:105]
	s_delay_alu instid0(VALU_DEP_3) | instskip(NEXT) | instid1(VALU_DEP_3)
	v_fma_f64 v[14:15], v[185:186], s[18:19], -v[6:7]
	v_add_f64 v[110:111], v[110:111], v[171:172]
	v_mul_f64 v[171:172], v[205:206], s[22:23]
	v_mul_f64 v[205:206], v[224:225], s[20:21]
	v_fma_f64 v[6:7], v[185:186], s[18:19], v[6:7]
	v_add_f64 v[14:15], v[14:15], v[169:170]
	v_mul_f64 v[169:170], v[199:200], s[24:25]
	v_mul_f64 v[199:200], v[218:219], s[20:21]
	s_delay_alu instid0(VALU_DEP_4) | instskip(SKIP_3) | instid1(VALU_DEP_3)
	v_add_f64 v[6:7], v[6:7], v[88:89]
	v_fma_f64 v[88:89], v[195:196], s[8:9], v[104:105]
	v_add_f64 v[14:15], v[124:125], v[14:15]
	v_fma_f64 v[124:125], v[201:202], s[8:9], v[169:170]
	v_add_f64 v[6:7], v[88:89], v[6:7]
	v_fma_f64 v[88:89], v[201:202], s[8:9], -v[169:170]
	s_delay_alu instid0(VALU_DEP_3) | instskip(SKIP_1) | instid1(VALU_DEP_1)
	v_add_f64 v[110:111], v[124:125], v[110:111]
	v_fma_f64 v[124:125], v[207:208], s[10:11], -v[171:172]
	v_add_f64 v[14:15], v[124:125], v[14:15]
	v_fma_f64 v[124:125], v[214:215], s[10:11], v[189:190]
	s_delay_alu instid0(VALU_DEP_1) | instskip(SKIP_1) | instid1(VALU_DEP_1)
	v_add_f64 v[110:111], v[124:125], v[110:111]
	v_fma_f64 v[124:125], v[220:221], s[16:17], -v[199:200]
	v_add_f64 v[124:125], v[124:125], v[14:15]
	v_fma_f64 v[14:15], v[226:227], s[16:17], v[205:206]
	s_delay_alu instid0(VALU_DEP_1) | instskip(SKIP_1) | instid1(VALU_DEP_1)
	v_add_f64 v[126:127], v[14:15], v[110:111]
	v_fma_f64 v[14:15], v[191:192], s[18:19], -v[108:109]
	v_add_f64 v[14:15], v[14:15], v[102:103]
	v_fma_f64 v[102:103], v[226:227], s[16:17], -v[205:206]
	s_delay_alu instid0(VALU_DEP_2) | instskip(SKIP_1) | instid1(VALU_DEP_1)
	v_add_f64 v[14:15], v[88:89], v[14:15]
	v_fma_f64 v[88:89], v[207:208], s[10:11], v[171:172]
	v_add_f64 v[6:7], v[88:89], v[6:7]
	v_fma_f64 v[88:89], v[214:215], s[10:11], -v[189:190]
	s_delay_alu instid0(VALU_DEP_1) | instskip(SKIP_1) | instid1(VALU_DEP_2)
	v_add_f64 v[14:15], v[88:89], v[14:15]
	v_fma_f64 v[88:89], v[220:221], s[16:17], v[199:200]
	v_add_f64 v[110:111], v[102:103], v[14:15]
	s_delay_alu instid0(VALU_DEP_2) | instskip(SKIP_3) | instid1(VALU_DEP_3)
	v_add_f64 v[108:109], v[88:89], v[6:7]
	v_fma_f64 v[6:7], v[185:186], s[16:17], v[22:23]
	v_fma_f64 v[14:15], v[191:192], s[16:17], -v[128:129]
	v_fma_f64 v[22:23], v[195:196], s[18:19], v[130:131]
	v_add_f64 v[6:7], v[6:7], v[100:101]
	s_delay_alu instid0(VALU_DEP_3) | instskip(NEXT) | instid1(VALU_DEP_2)
	v_add_f64 v[14:15], v[14:15], v[173:174]
	v_add_f64 v[6:7], v[22:23], v[6:7]
	s_delay_alu instid0(VALU_DEP_2) | instskip(NEXT) | instid1(VALU_DEP_2)
	v_add_f64 v[4:5], v[4:5], v[14:15]
	v_add_f64 v[6:7], v[8:9], v[6:7]
	v_fma_f64 v[8:9], v[214:215], s[2:3], -v[106:107]
	s_delay_alu instid0(VALU_DEP_1) | instskip(SKIP_1) | instid1(VALU_DEP_2)
	v_add_f64 v[4:5], v[8:9], v[4:5]
	v_fma_f64 v[8:9], v[220:221], s[10:11], v[12:13]
	v_add_f64 v[106:107], v[10:11], v[4:5]
	v_fma_f64 v[4:5], v[185:186], s[2:3], v[246:247]
	s_delay_alu instid0(VALU_DEP_3) | instskip(SKIP_4) | instid1(VALU_DEP_4)
	v_add_f64 v[104:105], v[8:9], v[6:7]
	v_fma_f64 v[6:7], v[191:192], s[2:3], -v[248:249]
	v_fma_f64 v[8:9], v[195:196], s[10:11], v[250:251]
	v_fma_f64 v[10:11], v[214:215], s[8:9], v[216:217]
	v_add_f64 v[4:5], v[4:5], v[98:99]
	v_add_f64 v[6:7], v[6:7], v[181:182]
	s_delay_alu instid0(VALU_DEP_2) | instskip(SKIP_1) | instid1(VALU_DEP_1)
	v_add_f64 v[4:5], v[8:9], v[4:5]
	v_fma_f64 v[8:9], v[201:202], s[10:11], -v[252:253]
	v_add_f64 v[6:7], v[8:9], v[6:7]
	v_fma_f64 v[8:9], v[207:208], s[18:19], v[254:255]
	v_mov_b32_e32 v255, v24
	s_delay_alu instid0(VALU_DEP_2) | instskip(SKIP_1) | instid1(VALU_DEP_2)
	v_add_f64 v[4:5], v[8:9], v[4:5]
	v_fma_f64 v[8:9], v[214:215], s[18:19], -v[20:21]
	v_add_f64 v[100:101], v[0:1], v[4:5]
	s_delay_alu instid0(VALU_DEP_2) | instskip(SKIP_3) | instid1(VALU_DEP_4)
	v_add_f64 v[6:7], v[8:9], v[6:7]
	v_fma_f64 v[0:1], v[185:186], s[8:9], v[230:231]
	v_fma_f64 v[4:5], v[195:196], s[2:3], v[234:235]
	v_fma_f64 v[8:9], v[207:208], s[8:9], -v[209:210]
	v_add_f64 v[102:103], v[2:3], v[6:7]
	s_delay_alu instid0(VALU_DEP_4) | instskip(SKIP_2) | instid1(VALU_DEP_3)
	v_add_f64 v[0:1], v[0:1], v[96:97]
	v_fma_f64 v[2:3], v[191:192], s[8:9], -v[232:233]
	v_fma_f64 v[6:7], v[226:227], s[18:19], -v[244:245]
	v_add_f64 v[0:1], v[4:5], v[0:1]
	s_delay_alu instid0(VALU_DEP_3) | instskip(SKIP_1) | instid1(VALU_DEP_1)
	v_add_f64 v[2:3], v[2:3], v[183:184]
	v_fma_f64 v[4:5], v[201:202], s[2:3], -v[236:237]
	v_add_f64 v[2:3], v[4:5], v[2:3]
	v_fma_f64 v[4:5], v[207:208], s[16:17], v[238:239]
	s_delay_alu instid0(VALU_DEP_1) | instskip(SKIP_1) | instid1(VALU_DEP_1)
	v_add_f64 v[0:1], v[4:5], v[0:1]
	v_fma_f64 v[4:5], v[214:215], s[16:17], -v[240:241]
	v_add_f64 v[2:3], v[4:5], v[2:3]
	v_fma_f64 v[4:5], v[220:221], s[18:19], v[242:243]
	s_delay_alu instid0(VALU_DEP_2) | instskip(NEXT) | instid1(VALU_DEP_2)
	v_add_f64 v[98:99], v[6:7], v[2:3]
	v_add_f64 v[96:97], v[4:5], v[0:1]
	v_fma_f64 v[0:1], v[185:186], s[10:11], -v[187:188]
	v_fma_f64 v[4:5], v[195:196], s[16:17], -v[197:198]
	v_fma_f64 v[2:3], v[191:192], s[10:11], v[193:194]
	v_fma_f64 v[6:7], v[201:202], s[16:17], v[203:204]
	s_delay_alu instid0(VALU_DEP_4) | instskip(NEXT) | instid1(VALU_DEP_3)
	v_add_f64 v[0:1], v[0:1], v[179:180]
	v_add_f64 v[2:3], v[2:3], v[90:91]
	s_delay_alu instid0(VALU_DEP_2) | instskip(SKIP_1) | instid1(VALU_DEP_3)
	v_add_f64 v[0:1], v[4:5], v[0:1]
	v_fma_f64 v[4:5], v[220:221], s[2:3], -v[222:223]
	v_add_f64 v[2:3], v[6:7], v[2:3]
	v_fma_f64 v[6:7], v[226:227], s[2:3], v[228:229]
	s_delay_alu instid0(VALU_DEP_4) | instskip(NEXT) | instid1(VALU_DEP_3)
	v_add_f64 v[0:1], v[8:9], v[0:1]
	v_add_f64 v[2:3], v[10:11], v[2:3]
	s_delay_alu instid0(VALU_DEP_2) | instskip(SKIP_1) | instid1(VALU_DEP_3)
	v_add_f64 v[128:129], v[4:5], v[0:1]
	v_add_f64 v[0:1], v[175:176], v[136:137]
	;; [unrolled: 1-line block ×4, first 2 shown]
	s_delay_alu instid0(VALU_DEP_3) | instskip(NEXT) | instid1(VALU_DEP_2)
	v_add_f64 v[0:1], v[0:1], v[145:146]
	v_add_f64 v[2:3], v[2:3], v[147:148]
	s_delay_alu instid0(VALU_DEP_2) | instskip(NEXT) | instid1(VALU_DEP_2)
	v_add_f64 v[0:1], v[0:1], v[153:154]
	v_add_f64 v[2:3], v[2:3], v[155:156]
	s_delay_alu instid0(VALU_DEP_2) | instskip(NEXT) | instid1(VALU_DEP_2)
	;; [unrolled: 3-line block ×6, first 2 shown]
	v_add_f64 v[0:1], v[0:1], v[143:144]
	v_add_f64 v[2:3], v[2:3], v[141:142]
	s_delay_alu instid0(VALU_DEP_2)
	v_add_f64 v[88:89], v[0:1], v[134:135]
	scratch_load_b32 v0, off, off           ; 4-byte Folded Reload
	v_add_f64 v[90:91], v[2:3], v[132:133]
	s_waitcnt vmcnt(0)
	v_lshl_add_u32 v212, v255, 4, v0
	ds_store_b128 v212, v[112:115] offset:1088
	ds_store_b128 v212, v[116:119] offset:1632
	;; [unrolled: 1-line block ×10, first 2 shown]
	ds_store_b128 v212, v[88:91]
	s_waitcnt lgkmcnt(0)
	s_waitcnt_vscnt null, 0x0
	s_barrier
	buffer_gl0_inv
	s_and_saveexec_b32 s8, vcc_lo
	s_cbranch_execz .LBB0_13
; %bb.12:
	v_lshlrev_b32_e32 v8, 4, v255
	s_add_u32 s2, s12, 0x1760
	s_addc_u32 s3, s13, 0
	s_clause 0x8
	global_load_b128 v[132:135], v8, s[2:3]
	global_load_b128 v[136:139], v8, s[2:3] offset:352
	global_load_b128 v[141:144], v8, s[2:3] offset:704
	;; [unrolled: 1-line block ×8, first 2 shown]
	ds_load_b128 v[169:172], v212
	ds_load_b128 v[173:176], v212 offset:352
	v_or_b32_e32 v0, 0x1600, v8
	ds_load_b128 v[185:188], v212 offset:704
	s_clause 0x2
	global_load_b128 v[189:192], v8, s[2:3] offset:3520
	global_load_b128 v[181:184], v8, s[2:3] offset:3168
	global_load_b128 v[177:180], v0, s[2:3]
	s_waitcnt vmcnt(11) lgkmcnt(2)
	v_mul_f64 v[0:1], v[171:172], v[134:135]
	v_mul_f64 v[2:3], v[169:170], v[134:135]
	s_waitcnt vmcnt(10) lgkmcnt(1)
	v_mul_f64 v[4:5], v[175:176], v[138:139]
	v_mul_f64 v[6:7], v[173:174], v[138:139]
	s_delay_alu instid0(VALU_DEP_4) | instskip(NEXT) | instid1(VALU_DEP_4)
	v_fma_f64 v[169:170], v[169:170], v[132:133], -v[0:1]
	v_fma_f64 v[171:172], v[171:172], v[132:133], v[2:3]
	ds_load_b128 v[132:135], v212 offset:1056
	s_waitcnt vmcnt(9) lgkmcnt(1)
	v_mul_f64 v[0:1], v[187:188], v[143:144]
	v_mul_f64 v[2:3], v[185:186], v[143:144]
	v_fma_f64 v[173:174], v[173:174], v[136:137], -v[4:5]
	v_fma_f64 v[175:176], v[175:176], v[136:137], v[6:7]
	s_waitcnt vmcnt(8) lgkmcnt(0)
	v_mul_f64 v[4:5], v[134:135], v[147:148]
	v_mul_f64 v[6:7], v[132:133], v[147:148]
	v_fma_f64 v[136:137], v[185:186], v[141:142], -v[0:1]
	v_fma_f64 v[138:139], v[187:188], v[141:142], v[2:3]
	global_load_b128 v[141:144], v8, s[2:3] offset:3872
	ds_load_b128 v[185:188], v212 offset:1408
	v_fma_f64 v[132:133], v[132:133], v[145:146], -v[4:5]
	v_fma_f64 v[134:135], v[134:135], v[145:146], v[6:7]
	ds_load_b128 v[145:148], v212 offset:1760
	v_add_co_u32 v4, s1, s2, v8
	s_waitcnt vmcnt(8) lgkmcnt(1)
	v_mul_f64 v[0:1], v[187:188], v[151:152]
	v_mul_f64 v[2:3], v[185:186], v[151:152]
	v_add_co_ci_u32_e64 v5, null, s3, 0, s1
	v_add_co_u32 v4, s1, 0x1000, v4
	s_delay_alu instid0(VALU_DEP_1)
	v_add_co_ci_u32_e64 v5, s1, 0, v5, s1
	v_fma_f64 v[185:186], v[185:186], v[149:150], -v[0:1]
	v_fma_f64 v[187:188], v[187:188], v[149:150], v[2:3]
	s_waitcnt vmcnt(7) lgkmcnt(0)
	v_mul_f64 v[0:1], v[147:148], v[155:156]
	v_mul_f64 v[2:3], v[145:146], v[155:156]
	ds_load_b128 v[149:152], v212 offset:2112
	v_fma_f64 v[145:146], v[145:146], v[153:154], -v[0:1]
	v_fma_f64 v[147:148], v[147:148], v[153:154], v[2:3]
	ds_load_b128 v[153:156], v212 offset:2464
	s_waitcnt vmcnt(6) lgkmcnt(1)
	v_mul_f64 v[0:1], v[151:152], v[159:160]
	v_mul_f64 v[2:3], v[149:150], v[159:160]
	s_delay_alu instid0(VALU_DEP_2) | instskip(NEXT) | instid1(VALU_DEP_2)
	v_fma_f64 v[149:150], v[149:150], v[157:158], -v[0:1]
	v_fma_f64 v[151:152], v[151:152], v[157:158], v[2:3]
	s_waitcnt vmcnt(5) lgkmcnt(0)
	v_mul_f64 v[0:1], v[155:156], v[163:164]
	v_mul_f64 v[2:3], v[153:154], v[163:164]
	ds_load_b128 v[157:160], v212 offset:2816
	v_fma_f64 v[153:154], v[153:154], v[161:162], -v[0:1]
	v_fma_f64 v[155:156], v[155:156], v[161:162], v[2:3]
	ds_load_b128 v[161:164], v212 offset:3168
	s_waitcnt vmcnt(4) lgkmcnt(1)
	v_mul_f64 v[0:1], v[159:160], v[167:168]
	v_mul_f64 v[2:3], v[157:158], v[167:168]
	s_delay_alu instid0(VALU_DEP_2) | instskip(NEXT) | instid1(VALU_DEP_2)
	v_fma_f64 v[157:158], v[157:158], v[165:166], -v[0:1]
	v_fma_f64 v[159:160], v[159:160], v[165:166], v[2:3]
	s_waitcnt vmcnt(2) lgkmcnt(0)
	v_mul_f64 v[0:1], v[163:164], v[183:184]
	v_mul_f64 v[2:3], v[161:162], v[183:184]
	ds_load_b128 v[165:168], v212 offset:3520
	v_fma_f64 v[161:162], v[161:162], v[181:182], -v[0:1]
	v_fma_f64 v[163:164], v[163:164], v[181:182], v[2:3]
	ds_load_b128 v[181:184], v212 offset:3872
	s_waitcnt lgkmcnt(1)
	v_mul_f64 v[0:1], v[167:168], v[191:192]
	v_mul_f64 v[2:3], v[165:166], v[191:192]
	s_delay_alu instid0(VALU_DEP_2) | instskip(NEXT) | instid1(VALU_DEP_2)
	v_fma_f64 v[165:166], v[165:166], v[189:190], -v[0:1]
	v_fma_f64 v[167:168], v[167:168], v[189:190], v[2:3]
	s_waitcnt vmcnt(0) lgkmcnt(0)
	v_mul_f64 v[0:1], v[183:184], v[143:144]
	v_mul_f64 v[2:3], v[181:182], v[143:144]
	s_delay_alu instid0(VALU_DEP_2) | instskip(NEXT) | instid1(VALU_DEP_2)
	v_fma_f64 v[181:182], v[181:182], v[141:142], -v[0:1]
	v_fma_f64 v[183:184], v[183:184], v[141:142], v[2:3]
	s_clause 0x1
	global_load_b128 v[141:144], v[4:5], off offset:128
	global_load_b128 v[189:192], v[4:5], off offset:480
	ds_load_b128 v[193:196], v212 offset:4224
	ds_load_b128 v[197:200], v212 offset:4576
	s_waitcnt vmcnt(1) lgkmcnt(1)
	v_mul_f64 v[0:1], v[195:196], v[143:144]
	v_mul_f64 v[2:3], v[193:194], v[143:144]
	s_delay_alu instid0(VALU_DEP_2) | instskip(NEXT) | instid1(VALU_DEP_2)
	v_fma_f64 v[193:194], v[193:194], v[141:142], -v[0:1]
	v_fma_f64 v[195:196], v[195:196], v[141:142], v[2:3]
	s_waitcnt vmcnt(0) lgkmcnt(0)
	v_mul_f64 v[0:1], v[199:200], v[191:192]
	v_mul_f64 v[2:3], v[197:198], v[191:192]
	s_delay_alu instid0(VALU_DEP_2) | instskip(NEXT) | instid1(VALU_DEP_2)
	v_fma_f64 v[141:142], v[197:198], v[189:190], -v[0:1]
	v_fma_f64 v[143:144], v[199:200], v[189:190], v[2:3]
	s_clause 0x1
	global_load_b128 v[189:192], v[4:5], off offset:832
	global_load_b128 v[197:200], v[4:5], off offset:1184
	ds_load_b128 v[201:204], v212 offset:4928
	ds_load_b128 v[205:208], v212 offset:5280
	s_waitcnt vmcnt(1) lgkmcnt(1)
	v_mul_f64 v[0:1], v[203:204], v[191:192]
	v_mul_f64 v[2:3], v[201:202], v[191:192]
	s_delay_alu instid0(VALU_DEP_2) | instskip(NEXT) | instid1(VALU_DEP_2)
	v_fma_f64 v[201:202], v[201:202], v[189:190], -v[0:1]
	v_fma_f64 v[203:204], v[203:204], v[189:190], v[2:3]
	s_waitcnt vmcnt(0) lgkmcnt(0)
	v_mul_f64 v[0:1], v[207:208], v[199:200]
	v_mul_f64 v[2:3], v[205:206], v[199:200]
	s_delay_alu instid0(VALU_DEP_2) | instskip(NEXT) | instid1(VALU_DEP_2)
	v_fma_f64 v[189:190], v[205:206], v[197:198], -v[0:1]
	v_fma_f64 v[191:192], v[207:208], v[197:198], v[2:3]
	ds_load_b128 v[197:200], v212 offset:5632
	s_waitcnt lgkmcnt(0)
	v_mul_f64 v[0:1], v[199:200], v[179:180]
	v_mul_f64 v[2:3], v[197:198], v[179:180]
	s_delay_alu instid0(VALU_DEP_2) | instskip(NEXT) | instid1(VALU_DEP_2)
	v_fma_f64 v[197:198], v[197:198], v[177:178], -v[0:1]
	v_fma_f64 v[199:200], v[199:200], v[177:178], v[2:3]
	ds_store_b128 v212, v[169:172]
	ds_store_b128 v212, v[173:176] offset:352
	ds_store_b128 v212, v[136:139] offset:704
	;; [unrolled: 1-line block ×16, first 2 shown]
.LBB0_13:
	s_or_b32 exec_lo, exec_lo, s8
	s_waitcnt lgkmcnt(0)
	s_barrier
	buffer_gl0_inv
	s_and_saveexec_b32 s1, vcc_lo
	s_cbranch_execz .LBB0_15
; %bb.14:
	ds_load_b128 v[88:91], v212
	ds_load_b128 v[128:131], v212 offset:352
	ds_load_b128 v[112:115], v212 offset:704
	;; [unrolled: 1-line block ×16, first 2 shown]
.LBB0_15:
	s_or_b32 exec_lo, exec_lo, s1
	s_waitcnt lgkmcnt(0)
	v_add_f64 v[51:52], v[130:131], -v[27:28]
	s_mov_b32 s10, 0x6c9a05f6
	s_mov_b32 s11, 0xbfe9895b
	v_add_f64 v[221:222], v[128:129], v[25:26]
	v_add_f64 v[41:42], v[114:115], -v[31:32]
	s_mov_b32 s2, 0x6ed5f1bb
	s_mov_b32 s16, 0x923c349f
	;; [unrolled: 1-line block ×4, first 2 shown]
	v_add_f64 v[141:142], v[112:113], v[29:30]
	v_add_f64 v[231:232], v[130:131], v[27:28]
	s_mov_b32 s8, 0xc61f0d01
	s_mov_b32 s9, 0xbfd183b1
	v_add_f64 v[233:234], v[128:129], -v[25:26]
	v_add_f64 v[143:144], v[114:115], v[31:32]
	v_add_f64 v[60:61], v[112:113], -v[29:30]
	v_add_f64 v[203:204], v[118:119], -v[35:36]
	s_mov_b32 s22, 0x5d8e7cdc
	s_mov_b32 s23, 0xbfd71e95
	v_add_f64 v[145:146], v[116:117], v[33:34]
	v_add_f64 v[147:148], v[118:119], v[35:36]
	s_mov_b32 s18, 0x370991
	s_mov_b32 s19, 0x3fedd6d0
	v_add_f64 v[62:63], v[116:117], -v[33:34]
	v_add_f64 v[43:44], v[122:123], -v[39:40]
	s_mov_b32 s26, 0x4363dd80
	s_mov_b32 s27, 0xbfe0d888
	v_add_f64 v[149:150], v[120:121], v[37:38]
	v_add_f64 v[155:156], v[122:123], v[39:40]
	s_mov_b32 s20, 0x910ea3b9
	s_mov_b32 s21, 0xbfeb34fa
	v_add_f64 v[64:65], v[120:121], -v[37:38]
	v_add_f64 v[47:48], v[126:127], -v[18:19]
	s_mov_b32 s34, 0xeb564b22
	s_mov_b32 s35, 0xbfefdd0d
	;; [unrolled: 1-line block ×4, first 2 shown]
	v_add_f64 v[159:160], v[124:125], v[16:17]
	v_mul_f64 v[12:13], v[51:52], s[10:11]
	v_add_f64 v[165:166], v[126:127], v[18:19]
	s_mov_b32 s24, 0x3259b75e
	s_mov_b32 s25, 0x3fb79ee6
	v_mul_f64 v[6:7], v[41:42], s[16:17]
	v_add_f64 v[161:162], v[124:125], -v[16:17]
	v_add_f64 v[191:192], v[110:111], -v[86:87]
	s_mov_b32 s44, 0x2a9d6da3
	s_mov_b32 s45, 0xbfe58eea
	v_add_f64 v[167:168], v[108:109], v[84:85]
	v_mul_f64 v[235:236], v[231:232], s[2:3]
	v_add_f64 v[171:172], v[110:111], v[86:87]
	s_mov_b32 s28, 0x75d4884
	s_mov_b32 s29, 0x3fe7a5f6
	v_mul_f64 v[10:11], v[143:144], s[8:9]
	v_add_f64 v[163:164], v[108:109], -v[84:85]
	v_mul_f64 v[14:15], v[203:204], s[22:23]
	v_add_f64 v[227:228], v[106:107], -v[94:95]
	s_mov_b32 s38, 0xacd6c6b4
	s_mov_b32 s39, 0xbfc7851a
	v_mul_f64 v[20:21], v[147:148], s[18:19]
	v_add_f64 v[173:174], v[104:105], v[92:93]
	v_add_f64 v[175:176], v[106:107], v[94:95]
	s_mov_b32 s30, 0x7faef3
	v_mul_f64 v[22:23], v[43:44], s[26:27]
	s_mov_b32 s31, 0xbfef7484
	v_add_f64 v[179:180], v[104:105], -v[92:93]
	v_add_f64 v[66:67], v[102:103], -v[98:99]
	v_mul_f64 v[151:152], v[155:156], s[20:21]
	s_mov_b32 s46, 0x7c9e640b
	s_mov_b32 s47, 0x3feca52d
	v_add_f64 v[177:178], v[100:101], v[96:97]
	v_mul_f64 v[153:154], v[47:48], s[40:41]
	v_add_f64 v[183:184], v[102:103], v[98:99]
	s_mov_b32 s36, 0x2b2883cd
	s_mov_b32 s37, 0x3fdc86fa
	v_add_f64 v[181:182], v[100:101], -v[96:97]
	v_mul_f64 v[8:9], v[51:52], s[26:27]
	v_fma_f64 v[0:1], v[221:222], s[2:3], -v[12:13]
	v_mul_f64 v[70:71], v[165:166], s[24:25]
	v_mul_f64 v[237:238], v[41:42], s[46:47]
	;; [unrolled: 1-line block ×3, first 2 shown]
	v_fma_f64 v[2:3], v[141:142], s[8:9], -v[6:7]
	v_mul_f64 v[241:242], v[143:144], s[36:37]
	v_mul_f64 v[157:158], v[191:192], s[44:45]
	;; [unrolled: 1-line block ×4, first 2 shown]
	s_mov_b32 s49, 0x3fe9895b
	s_mov_b32 s48, s10
	v_mul_f64 v[189:190], v[171:172], s[28:29]
	v_mul_f64 v[243:244], v[43:44], s[48:49]
	;; [unrolled: 1-line block ×3, first 2 shown]
	v_fma_f64 v[4:5], v[60:61], s[16:17], v[10:11]
	v_mul_f64 v[247:248], v[47:48], s[22:23]
	v_mul_f64 v[185:186], v[165:166], s[18:19]
	;; [unrolled: 1-line block ×5, first 2 shown]
	s_mov_b32 s43, 0x3fe58eea
	s_mov_b32 s42, s44
	v_mul_f64 v[72:73], v[175:176], s[30:31]
	v_mul_f64 v[251:252], v[227:228], s[42:43]
	;; [unrolled: 1-line block ×3, first 2 shown]
	s_mov_b32 s51, 0xbfeec746
	s_mov_b32 s50, s16
	v_mul_f64 v[76:77], v[66:67], s[46:47]
	v_mul_f64 v[253:254], v[66:67], s[50:51]
	s_barrier
	buffer_gl0_inv
	v_mul_f64 v[78:79], v[183:184], s[36:37]
	v_mul_f64 v[195:196], v[183:184], s[8:9]
	v_add_f64 v[0:1], v[88:89], v[0:1]
	s_delay_alu instid0(VALU_DEP_1) | instskip(SKIP_1) | instid1(VALU_DEP_1)
	v_add_f64 v[0:1], v[2:3], v[0:1]
	v_fma_f64 v[2:3], v[233:234], s[10:11], v[235:236]
	v_add_f64 v[2:3], v[90:91], v[2:3]
	s_delay_alu instid0(VALU_DEP_1) | instskip(SKIP_1) | instid1(VALU_DEP_1)
	v_add_f64 v[2:3], v[4:5], v[2:3]
	v_fma_f64 v[4:5], v[145:146], s[18:19], -v[14:15]
	v_add_f64 v[0:1], v[4:5], v[0:1]
	v_fma_f64 v[4:5], v[62:63], s[22:23], v[20:21]
	s_delay_alu instid0(VALU_DEP_1) | instskip(SKIP_1) | instid1(VALU_DEP_1)
	v_add_f64 v[2:3], v[4:5], v[2:3]
	v_fma_f64 v[4:5], v[149:150], s[20:21], -v[22:23]
	v_add_f64 v[0:1], v[4:5], v[0:1]
	v_fma_f64 v[4:5], v[64:65], s[26:27], v[151:152]
	s_delay_alu instid0(VALU_DEP_1) | instskip(SKIP_1) | instid1(VALU_DEP_1)
	v_add_f64 v[2:3], v[4:5], v[2:3]
	v_fma_f64 v[4:5], v[159:160], s[24:25], -v[153:154]
	v_add_f64 v[0:1], v[4:5], v[0:1]
	v_fma_f64 v[4:5], v[161:162], s[40:41], v[70:71]
	s_delay_alu instid0(VALU_DEP_1) | instskip(SKIP_1) | instid1(VALU_DEP_1)
	v_add_f64 v[2:3], v[4:5], v[2:3]
	v_fma_f64 v[4:5], v[167:168], s[28:29], -v[157:158]
	v_add_f64 v[0:1], v[4:5], v[0:1]
	v_fma_f64 v[4:5], v[163:164], s[44:45], v[189:190]
	s_delay_alu instid0(VALU_DEP_1) | instskip(SKIP_1) | instid1(VALU_DEP_1)
	v_add_f64 v[2:3], v[4:5], v[2:3]
	v_fma_f64 v[4:5], v[173:174], s[30:31], -v[68:69]
	v_add_f64 v[0:1], v[4:5], v[0:1]
	v_fma_f64 v[4:5], v[179:180], s[38:39], v[72:73]
	s_delay_alu instid0(VALU_DEP_1) | instskip(SKIP_1) | instid1(VALU_DEP_1)
	v_add_f64 v[2:3], v[4:5], v[2:3]
	v_fma_f64 v[4:5], v[177:178], s[36:37], -v[76:77]
	v_add_f64 v[132:133], v[4:5], v[0:1]
	v_fma_f64 v[0:1], v[181:182], s[46:47], v[78:79]
	v_fma_f64 v[4:5], v[60:61], s[46:47], v[241:242]
	s_delay_alu instid0(VALU_DEP_2) | instskip(SKIP_2) | instid1(VALU_DEP_2)
	v_add_f64 v[134:135], v[0:1], v[2:3]
	v_fma_f64 v[0:1], v[221:222], s[20:21], -v[8:9]
	v_fma_f64 v[2:3], v[141:142], s[36:37], -v[237:238]
	v_add_f64 v[0:1], v[88:89], v[0:1]
	s_delay_alu instid0(VALU_DEP_1) | instskip(SKIP_1) | instid1(VALU_DEP_1)
	v_add_f64 v[0:1], v[2:3], v[0:1]
	v_fma_f64 v[2:3], v[233:234], s[26:27], v[209:210]
	v_add_f64 v[2:3], v[90:91], v[2:3]
	s_delay_alu instid0(VALU_DEP_1) | instskip(SKIP_1) | instid1(VALU_DEP_1)
	v_add_f64 v[2:3], v[4:5], v[2:3]
	v_fma_f64 v[4:5], v[145:146], s[24:25], -v[239:240]
	v_add_f64 v[0:1], v[4:5], v[0:1]
	v_fma_f64 v[4:5], v[62:63], s[34:35], v[245:246]
	s_delay_alu instid0(VALU_DEP_1) | instskip(SKIP_1) | instid1(VALU_DEP_1)
	v_add_f64 v[2:3], v[4:5], v[2:3]
	v_fma_f64 v[4:5], v[149:150], s[2:3], -v[243:244]
	v_add_f64 v[0:1], v[4:5], v[0:1]
	v_fma_f64 v[4:5], v[64:65], s[48:49], v[169:170]
	;; [unrolled: 5-line block ×6, first 2 shown]
	s_delay_alu instid0(VALU_DEP_1)
	v_add_f64 v[138:139], v[0:1], v[2:3]
	s_and_saveexec_b32 s1, vcc_lo
	s_cbranch_execz .LBB0_17
; %bb.16:
	v_add_f64 v[0:1], v[90:91], v[130:131]
	v_add_f64 v[2:3], v[88:89], v[128:129]
	scratch_store_b64 off, v[14:15], off offset:388 ; 8-byte Folded Spill
	v_mul_f64 v[14:15], v[233:234], s[50:51]
	s_mov_b32 s55, 0x3fd71e95
	s_mov_b32 s54, s22
	;; [unrolled: 1-line block ×4, first 2 shown]
	v_mul_f64 v[213:214], v[66:67], s[40:41]
	v_mul_f64 v[219:220], v[163:164], s[16:17]
	;; [unrolled: 1-line block ×11, first 2 shown]
	scratch_store_b64 off, v[6:7], off offset:380 ; 8-byte Folded Spill
	v_mul_f64 v[6:7], v[221:222], s[20:21]
	v_add_f64 v[0:1], v[0:1], v[114:115]
	v_add_f64 v[2:3], v[2:3], v[112:113]
	s_delay_alu instid0(VALU_DEP_3) | instskip(SKIP_1) | instid1(VALU_DEP_4)
	v_add_f64 v[6:7], v[6:7], v[8:9]
	v_mul_f64 v[8:9], v[233:234], s[10:11]
	v_add_f64 v[0:1], v[0:1], v[118:119]
	s_delay_alu instid0(VALU_DEP_4) | instskip(NEXT) | instid1(VALU_DEP_3)
	v_add_f64 v[2:3], v[2:3], v[116:117]
	v_add_f64 v[8:9], v[235:236], -v[8:9]
	v_mul_f64 v[235:236], v[181:182], s[40:41]
	s_delay_alu instid0(VALU_DEP_4) | instskip(NEXT) | instid1(VALU_DEP_4)
	v_add_f64 v[0:1], v[0:1], v[122:123]
	v_add_f64 v[2:3], v[2:3], v[120:121]
	s_delay_alu instid0(VALU_DEP_2) | instskip(NEXT) | instid1(VALU_DEP_2)
	v_add_f64 v[0:1], v[0:1], v[126:127]
	v_add_f64 v[2:3], v[2:3], v[124:125]
	;; [unrolled: 1-line block ×3, first 2 shown]
	s_delay_alu instid0(VALU_DEP_3) | instskip(NEXT) | instid1(VALU_DEP_3)
	v_add_f64 v[0:1], v[0:1], v[110:111]
	v_add_f64 v[2:3], v[2:3], v[108:109]
	v_mul_f64 v[108:109], v[51:52], s[22:23]
	v_mul_f64 v[110:111], v[51:52], s[52:53]
	s_delay_alu instid0(VALU_DEP_4) | instskip(NEXT) | instid1(VALU_DEP_4)
	v_add_f64 v[0:1], v[0:1], v[106:107]
	v_add_f64 v[2:3], v[2:3], v[104:105]
	v_mul_f64 v[106:107], v[51:52], s[44:45]
	v_mul_f64 v[104:105], v[51:52], s[34:35]
	v_fma_f64 v[120:121], v[221:222], s[18:19], v[108:109]
	v_fma_f64 v[108:109], v[221:222], s[18:19], -v[108:109]
	v_fma_f64 v[122:123], v[221:222], s[36:37], v[110:111]
	v_fma_f64 v[110:111], v[221:222], s[36:37], -v[110:111]
	v_add_f64 v[0:1], v[0:1], v[102:103]
	v_add_f64 v[2:3], v[2:3], v[100:101]
	v_fma_f64 v[118:119], v[221:222], s[28:29], v[106:107]
	v_fma_f64 v[106:107], v[221:222], s[28:29], -v[106:107]
	v_mul_f64 v[100:101], v[51:52], s[38:39]
	v_mul_f64 v[102:103], v[51:52], s[50:51]
	v_fma_f64 v[116:117], v[221:222], s[24:25], -v[104:105]
	v_fma_f64 v[104:105], v[221:222], s[24:25], v[104:105]
	v_mul_f64 v[52:53], v[181:182], s[10:11]
	v_add_f64 v[0:1], v[0:1], v[98:99]
	v_add_f64 v[2:3], v[2:3], v[96:97]
	v_fma_f64 v[112:113], v[221:222], s[30:31], -v[100:101]
	v_fma_f64 v[100:101], v[221:222], s[30:31], v[100:101]
	v_fma_f64 v[114:115], v[221:222], s[8:9], -v[102:103]
	v_fma_f64 v[102:103], v[221:222], s[8:9], v[102:103]
	v_add_f64 v[116:117], v[88:89], v[116:117]
	v_add_f64 v[104:105], v[88:89], v[104:105]
	v_fma_f64 v[54:55], v[183:184], s[2:3], -v[52:53]
	v_add_f64 v[0:1], v[0:1], v[94:95]
	v_add_f64 v[2:3], v[2:3], v[92:93]
	;; [unrolled: 1-line block ×8, first 2 shown]
	v_fma_f64 v[86:87], v[231:232], s[8:9], v[14:15]
	v_fma_f64 v[14:15], v[231:232], s[8:9], -v[14:15]
	s_delay_alu instid0(VALU_DEP_4) | instskip(NEXT) | instid1(VALU_DEP_4)
	v_add_f64 v[0:1], v[0:1], v[18:19]
	v_add_f64 v[2:3], v[2:3], v[16:17]
	v_mul_f64 v[16:17], v[233:234], s[34:35]
	v_mul_f64 v[18:19], v[233:234], s[44:45]
	s_delay_alu instid0(VALU_DEP_4) | instskip(NEXT) | instid1(VALU_DEP_4)
	v_add_f64 v[0:1], v[0:1], v[39:40]
	v_add_f64 v[2:3], v[2:3], v[37:38]
	s_delay_alu instid0(VALU_DEP_4) | instskip(NEXT) | instid1(VALU_DEP_4)
	v_fma_f64 v[92:93], v[231:232], s[24:25], v[16:17]
	v_fma_f64 v[94:95], v[231:232], s[28:29], -v[18:19]
	v_fma_f64 v[18:19], v[231:232], s[28:29], v[18:19]
	v_fma_f64 v[16:17], v[231:232], s[24:25], -v[16:17]
	v_add_f64 v[0:1], v[0:1], v[35:36]
	v_add_f64 v[2:3], v[2:3], v[33:34]
	v_mul_f64 v[36:37], v[43:44], s[52:53]
	s_delay_alu instid0(VALU_DEP_3) | instskip(NEXT) | instid1(VALU_DEP_3)
	v_add_f64 v[0:1], v[0:1], v[31:32]
	v_add_f64 v[4:5], v[2:3], v[29:30]
	v_mul_f64 v[32:33], v[64:65], s[52:53]
	s_delay_alu instid0(VALU_DEP_4) | instskip(NEXT) | instid1(VALU_DEP_4)
	v_fma_f64 v[38:39], v[149:150], s[36:37], v[36:37]
	v_add_f64 v[2:3], v[0:1], v[27:28]
	s_delay_alu instid0(VALU_DEP_4)
	v_add_f64 v[0:1], v[4:5], v[25:26]
	v_mul_f64 v[4:5], v[233:234], s[26:27]
	v_mul_f64 v[24:25], v[227:228], s[48:49]
	;; [unrolled: 1-line block ×3, first 2 shown]
	v_fma_f64 v[34:35], v[155:156], s[36:37], -v[32:33]
	scratch_store_b128 off, v[0:3], off offset:4 ; 16-byte Folded Spill
	v_add_f64 v[0:1], v[90:91], v[86:87]
	v_add_f64 v[4:5], v[209:210], -v[4:5]
	v_add_f64 v[209:210], v[90:91], v[14:15]
	v_mul_f64 v[14:15], v[62:63], s[26:27]
	v_add_f64 v[86:87], v[90:91], v[94:95]
	v_add_f64 v[94:95], v[88:89], v[120:121]
	v_fma_f64 v[26:27], v[173:174], s[2:3], v[24:25]
	v_fma_f64 v[30:31], v[183:184], s[28:29], -v[28:29]
	v_mul_f64 v[120:121], v[64:65], s[26:27]
	v_add_f64 v[2:3], v[90:91], v[8:9]
	v_mul_f64 v[8:9], v[60:61], s[54:55]
	scratch_store_b64 off, v[0:1], off offset:420 ; 8-byte Folded Spill
	v_add_f64 v[0:1], v[90:91], v[92:93]
	v_add_f64 v[124:125], v[90:91], v[4:5]
	v_add_f64 v[92:93], v[90:91], v[16:17]
	v_fma_f64 v[4:5], v[143:144], s[18:19], v[8:9]
	v_fma_f64 v[8:9], v[143:144], s[18:19], -v[8:9]
	scratch_store_b64 off, v[0:1], off offset:372 ; 8-byte Folded Spill
	v_add_f64 v[0:1], v[90:91], v[18:19]
	v_fma_f64 v[18:19], v[147:148], s[20:21], v[14:15]
	scratch_store_b64 off, v[0:1], off offset:340 ; 8-byte Folded Spill
	v_add_f64 v[0:1], v[88:89], v[106:107]
	scratch_store_b64 off, v[20:21], off offset:412 ; 8-byte Folded Spill
	v_mul_f64 v[20:21], v[233:234], s[22:23]
	scratch_store_b64 off, v[0:1], off offset:332 ; 8-byte Folded Spill
	v_fma_f64 v[96:97], v[231:232], s[18:19], -v[20:21]
	v_fma_f64 v[20:21], v[231:232], s[18:19], v[20:21]
	s_delay_alu instid0(VALU_DEP_2) | instskip(NEXT) | instid1(VALU_DEP_2)
	v_add_f64 v[16:17], v[90:91], v[96:97]
	v_add_f64 v[0:1], v[90:91], v[20:21]
	scratch_store_b64 off, v[10:11], off offset:404 ; 8-byte Folded Spill
	v_mul_f64 v[10:11], v[221:222], s[2:3]
	v_add_f64 v[96:97], v[88:89], v[118:119]
	v_dual_mov_b32 v20, v151 :: v_dual_mov_b32 v21, v152
	v_mul_f64 v[151:152], v[227:228], s[46:47]
	scratch_load_b64 v[118:119], off, off offset:388 ; 8-byte Folded Reload
	v_add_f64 v[120:121], v[20:21], -v[120:121]
	scratch_store_b64 off, v[0:1], off offset:36 ; 8-byte Folded Spill
	v_add_f64 v[0:1], v[88:89], v[108:109]
	v_add_f64 v[10:11], v[10:11], v[12:13]
	v_mul_f64 v[12:13], v[233:234], s[38:39]
	scratch_store_b64 off, v[22:23], off offset:396 ; 8-byte Folded Spill
	v_mul_f64 v[22:23], v[233:234], s[52:53]
	scratch_load_b64 v[20:21], off, off offset:396 ; 8-byte Folded Reload
	scratch_store_b64 off, v[0:1], off offset:20 ; 8-byte Folded Spill
	v_add_f64 v[221:222], v[88:89], v[10:11]
	v_fma_f64 v[84:85], v[231:232], s[30:31], v[12:13]
	v_mul_f64 v[10:11], v[41:42], s[54:55]
	v_fma_f64 v[98:99], v[231:232], s[36:37], -v[22:23]
	v_fma_f64 v[22:23], v[231:232], s[36:37], v[22:23]
	v_add_f64 v[0:1], v[88:89], v[122:123]
	v_fma_f64 v[12:13], v[231:232], s[30:31], -v[12:13]
	v_dual_mov_b32 v122, v153 :: v_dual_mov_b32 v123, v154
	v_mul_f64 v[153:154], v[64:65], s[54:55]
	v_add_f64 v[84:85], v[90:91], v[84:85]
	v_fma_f64 v[6:7], v[141:142], s[18:19], -v[10:11]
	v_add_f64 v[108:109], v[90:91], v[98:99]
	v_fma_f64 v[10:11], v[141:142], s[18:19], v[10:11]
	scratch_store_b64 off, v[0:1], off offset:364 ; 8-byte Folded Spill
	v_add_f64 v[0:1], v[90:91], v[22:23]
	v_add_f64 v[12:13], v[90:91], v[12:13]
	v_dual_mov_b32 v22, v70 :: v_dual_mov_b32 v23, v71
	v_dual_mov_b32 v71, v42 :: v_dual_mov_b32 v70, v41
	v_add_f64 v[4:5], v[4:5], v[84:85]
	v_add_f64 v[6:7], v[6:7], v[112:113]
	;; [unrolled: 1-line block ×3, first 2 shown]
	v_mul_f64 v[100:101], v[159:160], s[18:19]
	scratch_store_b64 off, v[0:1], off offset:356 ; 8-byte Folded Spill
	v_add_f64 v[0:1], v[88:89], v[110:111]
	v_add_f64 v[8:9], v[8:9], v[12:13]
	v_fma_f64 v[12:13], v[147:148], s[20:21], -v[14:15]
	v_fma_f64 v[14:15], v[177:178], s[24:25], v[213:214]
	v_add_f64 v[4:5], v[18:19], v[4:5]
	v_mul_f64 v[18:19], v[203:204], s[26:27]
	v_add_f64 v[100:101], v[100:101], v[247:248]
	v_mul_f64 v[247:248], v[62:63], s[10:11]
	scratch_store_b64 off, v[0:1], off offset:348 ; 8-byte Folded Spill
	v_mul_f64 v[0:1], v[191:192], s[26:27]
	v_add_f64 v[8:9], v[12:13], v[8:9]
	v_fma_f64 v[84:85], v[145:146], s[20:21], -v[18:19]
	v_fma_f64 v[12:13], v[145:146], s[20:21], v[18:19]
	v_mul_f64 v[18:19], v[62:63], s[34:35]
	s_delay_alu instid0(VALU_DEP_3) | instskip(SKIP_1) | instid1(VALU_DEP_4)
	v_add_f64 v[6:7], v[84:85], v[6:7]
	v_mul_f64 v[84:85], v[64:65], s[42:43]
	v_add_f64 v[10:11], v[12:13], v[10:11]
	s_delay_alu instid0(VALU_DEP_4) | instskip(SKIP_1) | instid1(VALU_DEP_4)
	v_add_f64 v[18:19], v[245:246], -v[18:19]
	v_mul_f64 v[245:246], v[41:42], s[34:35]
	v_fma_f64 v[88:89], v[155:156], s[28:29], v[84:85]
	v_fma_f64 v[12:13], v[155:156], s[28:29], -v[84:85]
	v_mul_f64 v[84:85], v[145:146], s[24:25]
	s_delay_alu instid0(VALU_DEP_3) | instskip(SKIP_1) | instid1(VALU_DEP_4)
	v_add_f64 v[4:5], v[88:89], v[4:5]
	v_mul_f64 v[88:89], v[43:44], s[42:43]
	v_add_f64 v[8:9], v[12:13], v[8:9]
	s_delay_alu instid0(VALU_DEP_4) | instskip(SKIP_1) | instid1(VALU_DEP_4)
	v_add_f64 v[84:85], v[84:85], v[239:240]
	v_mul_f64 v[239:240], v[181:182], s[38:39]
	v_fma_f64 v[90:91], v[149:150], s[28:29], -v[88:89]
	v_fma_f64 v[12:13], v[149:150], s[28:29], v[88:89]
	v_mul_f64 v[88:89], v[64:65], s[48:49]
	s_delay_alu instid0(VALU_DEP_3) | instskip(SKIP_1) | instid1(VALU_DEP_4)
	v_add_f64 v[6:7], v[90:91], v[6:7]
	v_mul_f64 v[90:91], v[161:162], s[10:11]
	v_add_f64 v[10:11], v[12:13], v[10:11]
	s_delay_alu instid0(VALU_DEP_4) | instskip(SKIP_1) | instid1(VALU_DEP_4)
	v_add_f64 v[88:89], v[169:170], -v[88:89]
	v_mul_f64 v[169:170], v[62:63], s[52:53]
	v_fma_f64 v[98:99], v[165:166], s[2:3], v[90:91]
	v_fma_f64 v[12:13], v[165:166], s[2:3], -v[90:91]
	v_mul_f64 v[90:91], v[149:150], s[2:3]
	s_delay_alu instid0(VALU_DEP_3) | instskip(SKIP_1) | instid1(VALU_DEP_4)
	v_add_f64 v[4:5], v[98:99], v[4:5]
	v_mul_f64 v[98:99], v[47:48], s[10:11]
	v_add_f64 v[8:9], v[12:13], v[8:9]
	s_delay_alu instid0(VALU_DEP_4) | instskip(SKIP_1) | instid1(VALU_DEP_4)
	v_add_f64 v[90:91], v[90:91], v[243:244]
	v_mul_f64 v[243:244], v[60:61], s[34:35]
	v_fma_f64 v[106:107], v[159:160], s[2:3], -v[98:99]
	v_fma_f64 v[12:13], v[159:160], s[2:3], v[98:99]
	v_mul_f64 v[98:99], v[161:162], s[22:23]
	s_delay_alu instid0(VALU_DEP_3) | instskip(SKIP_1) | instid1(VALU_DEP_4)
	v_add_f64 v[6:7], v[106:107], v[6:7]
	v_mul_f64 v[106:107], v[163:164], s[46:47]
	v_add_f64 v[10:11], v[12:13], v[10:11]
	s_delay_alu instid0(VALU_DEP_4) | instskip(SKIP_1) | instid1(VALU_DEP_4)
	v_add_f64 v[98:99], v[185:186], -v[98:99]
	v_mul_f64 v[185:186], v[203:204], s[52:53]
	v_fma_f64 v[110:111], v[171:172], s[36:37], v[106:107]
	v_fma_f64 v[12:13], v[171:172], s[36:37], -v[106:107]
	v_mul_f64 v[106:107], v[163:164], s[38:39]
	s_delay_alu instid0(VALU_DEP_3) | instskip(SKIP_1) | instid1(VALU_DEP_4)
	v_add_f64 v[4:5], v[110:111], v[4:5]
	v_mul_f64 v[110:111], v[191:192], s[46:47]
	v_add_f64 v[8:9], v[12:13], v[8:9]
	s_delay_alu instid0(VALU_DEP_4) | instskip(SKIP_1) | instid1(VALU_DEP_4)
	v_add_f64 v[106:107], v[187:188], -v[106:107]
	v_mul_f64 v[187:188], v[64:65], s[34:35]
	v_fma_f64 v[112:113], v[167:168], s[36:37], -v[110:111]
	v_fma_f64 v[12:13], v[167:168], s[36:37], v[110:111]
	v_mul_f64 v[110:111], v[167:168], s[30:31]
	s_delay_alu instid0(VALU_DEP_3) | instskip(SKIP_1) | instid1(VALU_DEP_4)
	v_add_f64 v[6:7], v[112:113], v[6:7]
	v_mul_f64 v[112:113], v[179:180], s[50:51]
	v_add_f64 v[10:11], v[12:13], v[10:11]
	s_delay_alu instid0(VALU_DEP_4) | instskip(SKIP_1) | instid1(VALU_DEP_4)
	v_add_f64 v[110:111], v[110:111], v[249:250]
	v_mul_f64 v[249:250], v[203:204], s[10:11]
	v_fma_f64 v[231:232], v[175:176], s[8:9], v[112:113]
	v_fma_f64 v[12:13], v[175:176], s[8:9], -v[112:113]
	v_mul_f64 v[112:113], v[203:204], s[16:17]
	s_delay_alu instid0(VALU_DEP_3) | instskip(SKIP_1) | instid1(VALU_DEP_4)
	v_add_f64 v[4:5], v[231:232], v[4:5]
	v_mul_f64 v[231:232], v[227:228], s[50:51]
	v_add_f64 v[8:9], v[12:13], v[8:9]
	s_delay_alu instid0(VALU_DEP_2) | instskip(SKIP_2) | instid1(VALU_DEP_3)
	v_fma_f64 v[12:13], v[173:174], s[8:9], v[231:232]
	v_fma_f64 v[233:234], v[173:174], s[8:9], -v[231:232]
	v_mul_f64 v[231:232], v[163:164], s[10:11]
	v_add_f64 v[12:13], v[12:13], v[10:11]
	v_fma_f64 v[10:11], v[183:184], s[24:25], -v[235:236]
	s_delay_alu instid0(VALU_DEP_4) | instskip(SKIP_2) | instid1(VALU_DEP_4)
	v_add_f64 v[233:234], v[233:234], v[6:7]
	v_fma_f64 v[6:7], v[183:184], s[24:25], v[235:236]
	v_mul_f64 v[235:236], v[179:180], s[26:27]
	v_add_f64 v[10:11], v[10:11], v[8:9]
	v_add_f64 v[8:9], v[14:15], v[12:13]
	v_mul_f64 v[12:13], v[60:61], s[46:47]
	v_mul_f64 v[14:15], v[141:142], s[36:37]
	v_add_f64 v[130:131], v[6:7], v[4:5]
	v_fma_f64 v[4:5], v[177:178], s[24:25], -v[213:214]
	v_mul_f64 v[213:214], v[47:48], s[50:51]
	v_dual_mov_b32 v6, v66 :: v_dual_mov_b32 v7, v67
	v_add_f64 v[12:13], v[241:242], -v[12:13]
	v_add_f64 v[14:15], v[14:15], v[237:238]
	v_mul_f64 v[237:238], v[227:228], s[26:27]
	v_add_f64 v[128:129], v[4:5], v[233:234]
	v_mul_f64 v[233:234], v[191:192], s[10:11]
	v_mul_f64 v[241:242], v[66:67], s[38:39]
	v_dual_mov_b32 v4, v43 :: v_dual_mov_b32 v5, v44
	v_add_f64 v[12:13], v[12:13], v[124:125]
	v_add_f64 v[14:15], v[14:15], v[126:127]
	v_mul_f64 v[124:125], v[60:61], s[44:45]
	v_mul_f64 v[126:127], v[41:42], s[44:45]
	s_delay_alu instid0(VALU_DEP_4) | instskip(NEXT) | instid1(VALU_DEP_4)
	v_add_f64 v[12:13], v[18:19], v[12:13]
	v_add_f64 v[14:15], v[84:85], v[14:15]
	v_mul_f64 v[18:19], v[179:180], s[42:43]
	v_mul_f64 v[84:85], v[173:174], s[28:29]
	s_delay_alu instid0(VALU_DEP_4) | instskip(NEXT) | instid1(VALU_DEP_4)
	v_add_f64 v[12:13], v[88:89], v[12:13]
	v_add_f64 v[14:15], v[90:91], v[14:15]
	s_delay_alu instid0(VALU_DEP_4) | instskip(NEXT) | instid1(VALU_DEP_4)
	v_add_f64 v[18:19], v[193:194], -v[18:19]
	v_add_f64 v[84:85], v[84:85], v[251:252]
	v_mul_f64 v[88:89], v[181:182], s[50:51]
	v_mul_f64 v[90:91], v[177:178], s[8:9]
	;; [unrolled: 1-line block ×4, first 2 shown]
	v_add_f64 v[12:13], v[98:99], v[12:13]
	v_add_f64 v[14:15], v[100:101], v[14:15]
	scratch_load_b64 v[98:99], off, off offset:412 ; 8-byte Folded Reload
	v_add_f64 v[88:89], v[195:196], -v[88:89]
	v_add_f64 v[90:91], v[90:91], v[253:254]
	v_mul_f64 v[195:196], v[161:162], s[50:51]
	v_mul_f64 v[253:254], v[43:44], s[38:39]
	s_mov_b32 s51, 0x3fe0d888
	s_mov_b32 s50, s26
	v_mul_f64 v[44:45], v[163:164], s[40:41]
	v_mul_f64 v[215:216], v[161:162], s[50:51]
	;; [unrolled: 1-line block ×4, first 2 shown]
	v_add_f64 v[12:13], v[106:107], v[12:13]
	v_add_f64 v[14:15], v[110:111], v[14:15]
	v_mul_f64 v[110:111], v[41:42], s[38:39]
	v_mul_f64 v[106:107], v[60:61], s[38:39]
	;; [unrolled: 1-line block ×3, first 2 shown]
	v_add_f64 v[12:13], v[18:19], v[12:13]
	v_add_f64 v[18:19], v[84:85], v[14:15]
	v_fma_f64 v[84:85], v[147:148], s[36:37], -v[169:170]
	s_delay_alu instid0(VALU_DEP_4) | instskip(NEXT) | instid1(VALU_DEP_4)
	v_fma_f64 v[42:43], v[165:166], s[30:31], -v[40:41]
	v_add_f64 v[14:15], v[88:89], v[12:13]
	s_delay_alu instid0(VALU_DEP_4) | instskip(SKIP_3) | instid1(VALU_DEP_3)
	v_add_f64 v[12:13], v[90:91], v[18:19]
	v_fma_f64 v[18:19], v[143:144], s[28:29], -v[124:125]
	v_fma_f64 v[88:89], v[147:148], s[2:3], -v[247:248]
	v_fma_f64 v[90:91], v[141:142], s[30:31], v[110:111]
	v_add_f64 v[16:17], v[18:19], v[16:17]
	v_fma_f64 v[18:19], v[141:142], s[28:29], v[126:127]
	s_delay_alu instid0(VALU_DEP_3) | instskip(SKIP_1) | instid1(VALU_DEP_4)
	v_add_f64 v[90:91], v[90:91], v[104:105]
	v_mul_f64 v[104:105], v[62:63], s[16:17]
	v_add_f64 v[16:17], v[84:85], v[16:17]
	s_delay_alu instid0(VALU_DEP_4) | instskip(SKIP_2) | instid1(VALU_DEP_2)
	v_add_f64 v[18:19], v[18:19], v[94:95]
	v_fma_f64 v[84:85], v[145:146], s[36:37], v[185:186]
	v_fma_f64 v[94:95], v[141:142], s[20:21], v[100:101]
	v_add_f64 v[18:19], v[84:85], v[18:19]
	v_fma_f64 v[84:85], v[155:156], s[24:25], -v[187:188]
	s_delay_alu instid0(VALU_DEP_3) | instskip(SKIP_1) | instid1(VALU_DEP_3)
	v_add_f64 v[94:95], v[94:95], v[102:103]
	v_mul_f64 v[102:103], v[62:63], s[42:43]
	v_add_f64 v[16:17], v[84:85], v[16:17]
	v_fma_f64 v[84:85], v[149:150], s[24:25], v[193:194]
	s_delay_alu instid0(VALU_DEP_1) | instskip(SKIP_1) | instid1(VALU_DEP_1)
	v_add_f64 v[18:19], v[84:85], v[18:19]
	v_fma_f64 v[84:85], v[165:166], s[8:9], -v[195:196]
	v_add_f64 v[16:17], v[84:85], v[16:17]
	v_fma_f64 v[84:85], v[159:160], s[8:9], v[213:214]
	s_delay_alu instid0(VALU_DEP_1) | instskip(SKIP_1) | instid1(VALU_DEP_1)
	v_add_f64 v[18:19], v[84:85], v[18:19]
	v_fma_f64 v[84:85], v[171:172], s[2:3], -v[231:232]
	;; [unrolled: 5-line block ×5, first 2 shown]
	v_add_f64 v[84:85], v[84:85], v[86:87]
	v_fma_f64 v[86:87], v[141:142], s[24:25], v[245:246]
	s_delay_alu instid0(VALU_DEP_2) | instskip(NEXT) | instid1(VALU_DEP_2)
	v_add_f64 v[84:85], v[88:89], v[84:85]
	v_add_f64 v[86:87], v[86:87], v[96:97]
	v_fma_f64 v[88:89], v[145:146], s[2:3], v[249:250]
	v_fma_f64 v[96:97], v[147:148], s[28:29], -v[102:103]
	s_delay_alu instid0(VALU_DEP_2) | instskip(SKIP_1) | instid1(VALU_DEP_1)
	v_add_f64 v[86:87], v[88:89], v[86:87]
	v_fma_f64 v[88:89], v[155:156], s[30:31], -v[251:252]
	v_add_f64 v[84:85], v[88:89], v[84:85]
	v_fma_f64 v[88:89], v[149:150], s[30:31], v[253:254]
	s_delay_alu instid0(VALU_DEP_1) | instskip(SKIP_1) | instid1(VALU_DEP_1)
	v_add_f64 v[86:87], v[88:89], v[86:87]
	v_fma_f64 v[88:89], v[165:166], s[20:21], -v[215:216]
	v_add_f64 v[84:85], v[88:89], v[84:85]
	v_fma_f64 v[88:89], v[159:160], s[20:21], v[217:218]
	s_delay_alu instid0(VALU_DEP_1) | instskip(SKIP_1) | instid1(VALU_DEP_1)
	;; [unrolled: 5-line block ×5, first 2 shown]
	v_add_f64 v[84:85], v[84:85], v[88:89]
	v_fma_f64 v[88:89], v[143:144], s[30:31], -v[106:107]
	v_add_f64 v[88:89], v[88:89], v[92:93]
	v_fma_f64 v[92:93], v[147:148], s[8:9], -v[104:105]
	s_delay_alu instid0(VALU_DEP_1) | instskip(SKIP_1) | instid1(VALU_DEP_1)
	v_add_f64 v[88:89], v[92:93], v[88:89]
	v_fma_f64 v[92:93], v[145:146], s[8:9], v[112:113]
	v_add_f64 v[90:91], v[92:93], v[90:91]
	v_fma_f64 v[92:93], v[155:156], s[18:19], -v[153:154]
	s_delay_alu instid0(VALU_DEP_1) | instskip(SKIP_1) | instid1(VALU_DEP_1)
	v_add_f64 v[88:89], v[92:93], v[88:89]
	v_fma_f64 v[92:93], v[149:150], s[18:19], v[199:200]
	;; [unrolled: 5-line block ×3, first 2 shown]
	v_add_f64 v[90:91], v[92:93], v[90:91]
	v_fma_f64 v[92:93], v[171:172], s[20:21], -v[197:198]
	s_delay_alu instid0(VALU_DEP_1) | instskip(SKIP_2) | instid1(VALU_DEP_2)
	v_add_f64 v[88:89], v[92:93], v[88:89]
	v_fma_f64 v[92:93], v[167:168], s[20:21], v[0:1]
	v_fma_f64 v[0:1], v[167:168], s[20:21], -v[0:1]
	v_add_f64 v[90:91], v[92:93], v[90:91]
	v_fma_f64 v[92:93], v[175:176], s[2:3], -v[201:202]
	s_delay_alu instid0(VALU_DEP_2) | instskip(NEXT) | instid1(VALU_DEP_2)
	v_add_f64 v[26:27], v[26:27], v[90:91]
	v_add_f64 v[88:89], v[92:93], v[88:89]
	s_delay_alu instid0(VALU_DEP_1) | instskip(SKIP_2) | instid1(VALU_DEP_2)
	v_add_f64 v[90:91], v[30:31], v[88:89]
	v_mul_f64 v[30:31], v[66:67], s[42:43]
	v_dual_mov_b32 v67, v48 :: v_dual_mov_b32 v66, v47
	v_fma_f64 v[88:89], v[177:178], s[28:29], v[30:31]
	s_delay_alu instid0(VALU_DEP_1) | instskip(SKIP_1) | instid1(VALU_DEP_1)
	v_add_f64 v[88:89], v[88:89], v[26:27]
	v_mul_f64 v[26:27], v[60:61], s[50:51]
	v_fma_f64 v[92:93], v[143:144], s[20:21], -v[26:27]
	s_delay_alu instid0(VALU_DEP_1) | instskip(SKIP_1) | instid1(VALU_DEP_2)
	v_add_f64 v[92:93], v[92:93], v[209:210]
	v_mul_f64 v[209:210], v[203:204], s[42:43]
	v_add_f64 v[92:93], v[96:97], v[92:93]
	s_delay_alu instid0(VALU_DEP_2) | instskip(NEXT) | instid1(VALU_DEP_2)
	v_fma_f64 v[96:97], v[145:146], s[28:29], v[209:210]
	v_add_f64 v[34:35], v[34:35], v[92:93]
	s_delay_alu instid0(VALU_DEP_2)
	v_add_f64 v[94:95], v[96:97], v[94:95]
	scratch_load_b64 v[96:97], off, off offset:380 ; 8-byte Folded Reload
	v_add_f64 v[34:35], v[42:43], v[34:35]
	v_mul_f64 v[42:43], v[47:48], s[38:39]
	v_fma_f64 v[46:47], v[171:172], s[24:25], -v[44:45]
	v_mul_f64 v[48:49], v[179:180], s[22:23]
	v_add_f64 v[38:39], v[38:39], v[94:95]
	s_delay_alu instid0(VALU_DEP_4) | instskip(NEXT) | instid1(VALU_DEP_4)
	v_fma_f64 v[92:93], v[159:160], s[30:31], v[42:43]
	v_add_f64 v[34:35], v[46:47], v[34:35]
	v_mul_f64 v[46:47], v[191:192], s[40:41]
	v_fma_f64 v[50:51], v[175:176], s[18:19], -v[48:49]
	s_delay_alu instid0(VALU_DEP_4) | instskip(NEXT) | instid1(VALU_DEP_3)
	v_add_f64 v[38:39], v[92:93], v[38:39]
	v_fma_f64 v[92:93], v[167:168], s[24:25], v[46:47]
	s_delay_alu instid0(VALU_DEP_3) | instskip(SKIP_1) | instid1(VALU_DEP_3)
	v_add_f64 v[34:35], v[50:51], v[34:35]
	v_mul_f64 v[50:51], v[227:228], s[22:23]
	v_add_f64 v[38:39], v[92:93], v[38:39]
	s_delay_alu instid0(VALU_DEP_3) | instskip(NEXT) | instid1(VALU_DEP_3)
	v_add_f64 v[94:95], v[54:55], v[34:35]
	v_fma_f64 v[92:93], v[173:174], s[18:19], v[50:51]
	v_mul_f64 v[34:35], v[6:7], s[10:11]
	s_delay_alu instid0(VALU_DEP_2) | instskip(NEXT) | instid1(VALU_DEP_2)
	v_add_f64 v[38:39], v[92:93], v[38:39]
	v_fma_f64 v[54:55], v[177:178], s[2:3], v[34:35]
	s_delay_alu instid0(VALU_DEP_1) | instskip(SKIP_3) | instid1(VALU_DEP_1)
	v_add_f64 v[92:93], v[54:55], v[38:39]
	scratch_load_b64 v[54:55], off, off offset:404 ; 8-byte Folded Reload
	v_mul_f64 v[38:39], v[60:61], s[16:17]
	s_waitcnt vmcnt(0)
	v_add_f64 v[38:39], v[54:55], -v[38:39]
	v_mul_f64 v[54:55], v[141:142], s[8:9]
	s_delay_alu instid0(VALU_DEP_2) | instskip(NEXT) | instid1(VALU_DEP_2)
	v_add_f64 v[2:3], v[38:39], v[2:3]
	v_add_f64 v[54:55], v[54:55], v[96:97]
	v_mul_f64 v[96:97], v[62:63], s[22:23]
	s_delay_alu instid0(VALU_DEP_2) | instskip(NEXT) | instid1(VALU_DEP_2)
	v_add_f64 v[38:39], v[54:55], v[221:222]
	v_add_f64 v[96:97], v[98:99], -v[96:97]
	v_mul_f64 v[98:99], v[145:146], s[18:19]
	v_mul_f64 v[54:55], v[167:168], s[28:29]
	s_delay_alu instid0(VALU_DEP_3) | instskip(NEXT) | instid1(VALU_DEP_3)
	v_add_f64 v[2:3], v[96:97], v[2:3]
	v_add_f64 v[98:99], v[98:99], v[118:119]
	v_mul_f64 v[118:119], v[149:150], s[20:21]
	s_delay_alu instid0(VALU_DEP_4)
	v_add_f64 v[54:55], v[54:55], v[157:158]
	v_mul_f64 v[96:97], v[179:180], s[38:39]
	s_mov_b32 s39, 0x3fc7851a
	v_add_f64 v[2:3], v[120:121], v[2:3]
	v_add_f64 v[38:39], v[98:99], v[38:39]
	v_add_f64 v[118:119], v[118:119], v[20:21]
	v_mul_f64 v[20:21], v[161:162], s[40:41]
	v_mul_f64 v[98:99], v[173:174], s[30:31]
	v_add_f64 v[96:97], v[72:73], -v[96:97]
	s_delay_alu instid0(VALU_DEP_4) | instskip(NEXT) | instid1(VALU_DEP_4)
	v_add_f64 v[38:39], v[118:119], v[38:39]
	v_add_f64 v[20:21], v[22:23], -v[20:21]
	v_mul_f64 v[22:23], v[159:160], s[24:25]
	v_add_f64 v[98:99], v[98:99], v[68:69]
	s_delay_alu instid0(VALU_DEP_3) | instskip(NEXT) | instid1(VALU_DEP_3)
	v_add_f64 v[2:3], v[20:21], v[2:3]
	v_add_f64 v[22:23], v[22:23], v[122:123]
	v_mul_f64 v[122:123], v[163:164], s[44:45]
	s_delay_alu instid0(VALU_DEP_2) | instskip(NEXT) | instid1(VALU_DEP_2)
	v_add_f64 v[20:21], v[22:23], v[38:39]
	v_add_f64 v[122:123], v[189:190], -v[122:123]
	v_mul_f64 v[38:39], v[177:178], s[36:37]
	v_mul_f64 v[22:23], v[181:182], s[46:47]
	s_delay_alu instid0(VALU_DEP_4) | instskip(NEXT) | instid1(VALU_DEP_4)
	v_add_f64 v[20:21], v[54:55], v[20:21]
	v_add_f64 v[2:3], v[122:123], v[2:3]
	s_delay_alu instid0(VALU_DEP_4) | instskip(NEXT) | instid1(VALU_DEP_4)
	v_add_f64 v[38:39], v[38:39], v[76:77]
	v_add_f64 v[22:23], v[78:79], -v[22:23]
	s_delay_alu instid0(VALU_DEP_4) | instskip(NEXT) | instid1(VALU_DEP_4)
	v_add_f64 v[20:21], v[98:99], v[20:21]
	v_add_f64 v[2:3], v[96:97], v[2:3]
	s_delay_alu instid0(VALU_DEP_2)
	v_add_f64 v[96:97], v[38:39], v[20:21]
	scratch_load_b64 v[20:21], off, off offset:420 ; 8-byte Folded Reload
	v_add_f64 v[98:99], v[22:23], v[2:3]
	v_fma_f64 v[2:3], v[143:144], s[20:21], v[26:27]
	v_fma_f64 v[22:23], v[147:148], s[28:29], v[102:103]
	v_fma_f64 v[26:27], v[177:178], s[2:3], -v[34:35]
	s_waitcnt vmcnt(0)
	s_delay_alu instid0(VALU_DEP_3) | instskip(SKIP_1) | instid1(VALU_DEP_2)
	v_add_f64 v[2:3], v[2:3], v[20:21]
	v_fma_f64 v[20:21], v[141:142], s[20:21], -v[100:101]
	v_add_f64 v[2:3], v[22:23], v[2:3]
	s_delay_alu instid0(VALU_DEP_2) | instskip(SKIP_1) | instid1(VALU_DEP_1)
	v_add_f64 v[20:21], v[20:21], v[114:115]
	v_fma_f64 v[22:23], v[145:146], s[28:29], -v[209:210]
	v_add_f64 v[20:21], v[22:23], v[20:21]
	v_fma_f64 v[22:23], v[155:156], s[36:37], v[32:33]
	s_delay_alu instid0(VALU_DEP_1) | instskip(SKIP_1) | instid1(VALU_DEP_1)
	v_add_f64 v[2:3], v[22:23], v[2:3]
	v_fma_f64 v[22:23], v[149:150], s[36:37], -v[36:37]
	v_add_f64 v[20:21], v[22:23], v[20:21]
	v_fma_f64 v[22:23], v[165:166], s[30:31], v[40:41]
	s_delay_alu instid0(VALU_DEP_1) | instskip(SKIP_1) | instid1(VALU_DEP_1)
	v_add_f64 v[2:3], v[22:23], v[2:3]
	v_fma_f64 v[22:23], v[159:160], s[30:31], -v[42:43]
	v_add_f64 v[20:21], v[22:23], v[20:21]
	v_fma_f64 v[22:23], v[171:172], s[24:25], v[44:45]
	s_delay_alu instid0(VALU_DEP_1) | instskip(SKIP_2) | instid1(VALU_DEP_2)
	v_add_f64 v[2:3], v[22:23], v[2:3]
	v_fma_f64 v[22:23], v[167:168], s[24:25], -v[46:47]
	v_mul_f64 v[46:47], v[6:7], s[26:27]
	v_add_f64 v[20:21], v[22:23], v[20:21]
	v_fma_f64 v[22:23], v[175:176], s[18:19], v[48:49]
	s_delay_alu instid0(VALU_DEP_1) | instskip(SKIP_1) | instid1(VALU_DEP_1)
	v_add_f64 v[2:3], v[22:23], v[2:3]
	v_fma_f64 v[22:23], v[173:174], s[18:19], -v[50:51]
	v_add_f64 v[20:21], v[22:23], v[20:21]
	v_fma_f64 v[22:23], v[183:184], s[2:3], v[52:53]
	s_delay_alu instid0(VALU_DEP_2)
	v_add_f64 v[100:101], v[26:27], v[20:21]
	scratch_load_b64 v[20:21], off, off offset:372 ; 8-byte Folded Reload
	v_add_f64 v[102:103], v[22:23], v[2:3]
	v_fma_f64 v[2:3], v[143:144], s[30:31], v[106:107]
	v_fma_f64 v[22:23], v[147:148], s[8:9], v[104:105]
	s_waitcnt vmcnt(0)
	s_delay_alu instid0(VALU_DEP_2) | instskip(SKIP_1) | instid1(VALU_DEP_2)
	v_add_f64 v[2:3], v[2:3], v[20:21]
	v_fma_f64 v[20:21], v[141:142], s[30:31], -v[110:111]
	v_add_f64 v[2:3], v[22:23], v[2:3]
	s_delay_alu instid0(VALU_DEP_2) | instskip(SKIP_1) | instid1(VALU_DEP_1)
	v_add_f64 v[20:21], v[20:21], v[116:117]
	v_fma_f64 v[22:23], v[145:146], s[8:9], -v[112:113]
	v_add_f64 v[20:21], v[22:23], v[20:21]
	v_fma_f64 v[22:23], v[155:156], s[18:19], v[153:154]
	s_delay_alu instid0(VALU_DEP_1) | instskip(SKIP_1) | instid1(VALU_DEP_1)
	v_add_f64 v[2:3], v[22:23], v[2:3]
	v_fma_f64 v[22:23], v[149:150], s[18:19], -v[199:200]
	v_add_f64 v[20:21], v[22:23], v[20:21]
	v_fma_f64 v[22:23], v[165:166], s[36:37], v[205:206]
	s_delay_alu instid0(VALU_DEP_1) | instskip(SKIP_1) | instid1(VALU_DEP_1)
	v_add_f64 v[2:3], v[22:23], v[2:3]
	v_fma_f64 v[22:23], v[159:160], s[36:37], -v[74:75]
	v_add_f64 v[20:21], v[22:23], v[20:21]
	v_fma_f64 v[22:23], v[171:172], s[20:21], v[197:198]
	s_delay_alu instid0(VALU_DEP_2) | instskip(NEXT) | instid1(VALU_DEP_2)
	v_add_f64 v[0:1], v[0:1], v[20:21]
	v_add_f64 v[2:3], v[22:23], v[2:3]
	v_fma_f64 v[20:21], v[175:176], s[2:3], v[201:202]
	v_fma_f64 v[22:23], v[177:178], s[28:29], -v[30:31]
	s_delay_alu instid0(VALU_DEP_2) | instskip(SKIP_4) | instid1(VALU_DEP_2)
	v_add_f64 v[2:3], v[20:21], v[2:3]
	v_fma_f64 v[20:21], v[173:174], s[2:3], -v[24:25]
	scratch_load_b64 v[24:25], off, off offset:364 ; 8-byte Folded Reload
	v_add_f64 v[0:1], v[20:21], v[0:1]
	v_fma_f64 v[20:21], v[183:184], s[28:29], v[28:29]
	v_add_f64 v[104:105], v[22:23], v[0:1]
	s_delay_alu instid0(VALU_DEP_2) | instskip(SKIP_2) | instid1(VALU_DEP_2)
	v_add_f64 v[106:107], v[20:21], v[2:3]
	v_mul_f64 v[20:21], v[70:71], s[10:11]
	v_mul_f64 v[0:1], v[60:61], s[10:11]
	v_fma_f64 v[22:23], v[141:142], s[2:3], v[20:21]
	s_delay_alu instid0(VALU_DEP_2) | instskip(SKIP_1) | instid1(VALU_DEP_2)
	v_fma_f64 v[2:3], v[143:144], s[2:3], -v[0:1]
	v_fma_f64 v[0:1], v[143:144], s[2:3], v[0:1]
	v_add_f64 v[2:3], v[2:3], v[108:109]
	s_waitcnt vmcnt(0)
	s_delay_alu instid0(VALU_DEP_4) | instskip(SKIP_1) | instid1(VALU_DEP_1)
	v_add_f64 v[22:23], v[22:23], v[24:25]
	v_mul_f64 v[24:25], v[62:63], s[38:39]
	v_fma_f64 v[26:27], v[147:148], s[30:31], -v[24:25]
	s_delay_alu instid0(VALU_DEP_1) | instskip(SKIP_1) | instid1(VALU_DEP_1)
	v_add_f64 v[2:3], v[26:27], v[2:3]
	v_mul_f64 v[26:27], v[203:204], s[38:39]
	v_fma_f64 v[28:29], v[145:146], s[30:31], v[26:27]
	s_delay_alu instid0(VALU_DEP_1) | instskip(SKIP_1) | instid1(VALU_DEP_1)
	v_add_f64 v[22:23], v[28:29], v[22:23]
	v_mul_f64 v[28:29], v[64:65], s[16:17]
	v_fma_f64 v[30:31], v[155:156], s[8:9], -v[28:29]
	s_delay_alu instid0(VALU_DEP_1) | instskip(SKIP_3) | instid1(VALU_DEP_1)
	v_add_f64 v[2:3], v[30:31], v[2:3]
	v_mul_f64 v[30:31], v[4:5], s[16:17]
	scratch_load_b64 v[4:5], off, off offset:348 ; 8-byte Folded Reload
	v_fma_f64 v[32:33], v[149:150], s[8:9], v[30:31]
	v_add_f64 v[22:23], v[32:33], v[22:23]
	v_mul_f64 v[32:33], v[161:162], s[42:43]
	s_delay_alu instid0(VALU_DEP_1) | instskip(NEXT) | instid1(VALU_DEP_1)
	v_fma_f64 v[34:35], v[165:166], s[28:29], -v[32:33]
	v_add_f64 v[2:3], v[34:35], v[2:3]
	v_mul_f64 v[34:35], v[66:67], s[42:43]
	s_delay_alu instid0(VALU_DEP_1) | instskip(NEXT) | instid1(VALU_DEP_1)
	v_fma_f64 v[36:37], v[159:160], s[28:29], v[34:35]
	v_add_f64 v[22:23], v[36:37], v[22:23]
	v_mul_f64 v[36:37], v[163:164], s[22:23]
	s_delay_alu instid0(VALU_DEP_1) | instskip(NEXT) | instid1(VALU_DEP_1)
	v_fma_f64 v[38:39], v[171:172], s[18:19], -v[36:37]
	v_add_f64 v[2:3], v[38:39], v[2:3]
	v_mul_f64 v[38:39], v[191:192], s[22:23]
	s_delay_alu instid0(VALU_DEP_1) | instskip(NEXT) | instid1(VALU_DEP_1)
	;; [unrolled: 8-line block ×3, first 2 shown]
	v_fma_f64 v[44:45], v[173:174], s[24:25], v[42:43]
	v_add_f64 v[22:23], v[44:45], v[22:23]
	v_mul_f64 v[44:45], v[181:182], s[26:27]
	s_delay_alu instid0(VALU_DEP_1) | instskip(NEXT) | instid1(VALU_DEP_1)
	v_fma_f64 v[48:49], v[183:184], s[20:21], -v[44:45]
	v_add_f64 v[110:111], v[48:49], v[2:3]
	v_fma_f64 v[2:3], v[177:178], s[20:21], v[46:47]
	s_delay_alu instid0(VALU_DEP_1)
	v_add_f64 v[108:109], v[2:3], v[22:23]
	scratch_load_b64 v[2:3], off, off offset:356 ; 8-byte Folded Reload
	v_fma_f64 v[22:23], v[177:178], s[20:21], -v[46:47]
	s_waitcnt vmcnt(0)
	v_add_f64 v[0:1], v[0:1], v[2:3]
	v_fma_f64 v[2:3], v[141:142], s[2:3], -v[20:21]
	v_fma_f64 v[20:21], v[147:148], s[30:31], v[24:25]
	v_fma_f64 v[24:25], v[155:156], s[24:25], v[187:188]
	s_delay_alu instid0(VALU_DEP_3) | instskip(NEXT) | instid1(VALU_DEP_3)
	v_add_f64 v[2:3], v[2:3], v[4:5]
	v_add_f64 v[0:1], v[20:21], v[0:1]
	v_fma_f64 v[20:21], v[145:146], s[30:31], -v[26:27]
	scratch_load_b64 v[4:5], off, off offset:332 ; 8-byte Folded Reload
	v_add_f64 v[2:3], v[20:21], v[2:3]
	v_fma_f64 v[20:21], v[155:156], s[8:9], v[28:29]
	s_delay_alu instid0(VALU_DEP_1) | instskip(SKIP_1) | instid1(VALU_DEP_1)
	v_add_f64 v[0:1], v[20:21], v[0:1]
	v_fma_f64 v[20:21], v[149:150], s[8:9], -v[30:31]
	v_add_f64 v[2:3], v[20:21], v[2:3]
	v_fma_f64 v[20:21], v[165:166], s[28:29], v[32:33]
	s_delay_alu instid0(VALU_DEP_1) | instskip(SKIP_1) | instid1(VALU_DEP_1)
	v_add_f64 v[0:1], v[20:21], v[0:1]
	v_fma_f64 v[20:21], v[159:160], s[28:29], -v[34:35]
	;; [unrolled: 5-line block ×4, first 2 shown]
	v_add_f64 v[2:3], v[20:21], v[2:3]
	v_fma_f64 v[20:21], v[183:184], s[20:21], v[44:45]
	s_delay_alu instid0(VALU_DEP_2)
	v_add_f64 v[112:113], v[22:23], v[2:3]
	scratch_load_b64 v[2:3], off, off offset:340 ; 8-byte Folded Reload
	v_add_f64 v[114:115], v[20:21], v[0:1]
	v_fma_f64 v[0:1], v[143:144], s[24:25], v[243:244]
	v_fma_f64 v[20:21], v[147:148], s[2:3], v[247:248]
	v_fma_f64 v[22:23], v[177:178], s[18:19], -v[207:208]
	s_waitcnt vmcnt(0)
	s_delay_alu instid0(VALU_DEP_3) | instskip(SKIP_1) | instid1(VALU_DEP_2)
	v_add_f64 v[0:1], v[0:1], v[2:3]
	v_fma_f64 v[2:3], v[141:142], s[24:25], -v[245:246]
	v_add_f64 v[0:1], v[20:21], v[0:1]
	s_delay_alu instid0(VALU_DEP_2) | instskip(SKIP_4) | instid1(VALU_DEP_1)
	v_add_f64 v[2:3], v[2:3], v[4:5]
	v_fma_f64 v[20:21], v[145:146], s[2:3], -v[249:250]
	scratch_load_b64 v[4:5], off, off offset:36 ; 8-byte Folded Reload
	v_add_f64 v[2:3], v[20:21], v[2:3]
	v_fma_f64 v[20:21], v[155:156], s[30:31], v[251:252]
	v_add_f64 v[0:1], v[20:21], v[0:1]
	v_fma_f64 v[20:21], v[149:150], s[30:31], -v[253:254]
	s_delay_alu instid0(VALU_DEP_1) | instskip(SKIP_1) | instid1(VALU_DEP_1)
	v_add_f64 v[2:3], v[20:21], v[2:3]
	v_fma_f64 v[20:21], v[165:166], s[20:21], v[215:216]
	v_add_f64 v[0:1], v[20:21], v[0:1]
	v_fma_f64 v[20:21], v[159:160], s[20:21], -v[217:218]
	s_delay_alu instid0(VALU_DEP_1) | instskip(SKIP_1) | instid1(VALU_DEP_1)
	v_add_f64 v[2:3], v[20:21], v[2:3]
	v_fma_f64 v[20:21], v[171:172], s[8:9], v[219:220]
	v_add_f64 v[0:1], v[20:21], v[0:1]
	v_fma_f64 v[20:21], v[167:168], s[8:9], -v[223:224]
	s_delay_alu instid0(VALU_DEP_1) | instskip(SKIP_1) | instid1(VALU_DEP_1)
	v_add_f64 v[2:3], v[20:21], v[2:3]
	v_fma_f64 v[20:21], v[175:176], s[36:37], v[225:226]
	v_add_f64 v[0:1], v[20:21], v[0:1]
	v_fma_f64 v[20:21], v[173:174], s[36:37], -v[151:152]
	s_delay_alu instid0(VALU_DEP_1) | instskip(SKIP_1) | instid1(VALU_DEP_2)
	v_add_f64 v[2:3], v[20:21], v[2:3]
	v_fma_f64 v[20:21], v[183:184], s[18:19], v[229:230]
	v_add_f64 v[116:117], v[22:23], v[2:3]
	s_delay_alu instid0(VALU_DEP_2)
	v_add_f64 v[118:119], v[20:21], v[0:1]
	v_fma_f64 v[0:1], v[143:144], s[28:29], v[124:125]
	v_fma_f64 v[2:3], v[141:142], s[28:29], -v[126:127]
	v_fma_f64 v[20:21], v[147:148], s[36:37], v[169:170]
	v_fma_f64 v[22:23], v[145:146], s[36:37], -v[185:186]
	s_waitcnt vmcnt(0)
	s_delay_alu instid0(VALU_DEP_4) | instskip(SKIP_3) | instid1(VALU_DEP_2)
	v_add_f64 v[0:1], v[0:1], v[4:5]
	scratch_load_b64 v[4:5], off, off offset:20 ; 8-byte Folded Reload
	v_add_f64 v[0:1], v[20:21], v[0:1]
	v_fma_f64 v[20:21], v[149:150], s[24:25], -v[193:194]
	v_add_f64 v[0:1], v[24:25], v[0:1]
	v_fma_f64 v[24:25], v[159:160], s[8:9], -v[213:214]
	s_waitcnt vmcnt(0)
	v_add_f64 v[2:3], v[2:3], v[4:5]
	s_delay_alu instid0(VALU_DEP_1) | instskip(SKIP_1) | instid1(VALU_DEP_2)
	v_add_f64 v[2:3], v[22:23], v[2:3]
	v_fma_f64 v[22:23], v[165:166], s[8:9], v[195:196]
	v_add_f64 v[2:3], v[20:21], v[2:3]
	v_fma_f64 v[20:21], v[171:172], s[2:3], v[231:232]
	s_delay_alu instid0(VALU_DEP_3) | instskip(SKIP_1) | instid1(VALU_DEP_4)
	v_add_f64 v[0:1], v[22:23], v[0:1]
	v_fma_f64 v[22:23], v[167:168], s[2:3], -v[233:234]
	v_add_f64 v[2:3], v[24:25], v[2:3]
	v_fma_f64 v[24:25], v[175:176], s[20:21], v[235:236]
	s_delay_alu instid0(VALU_DEP_4) | instskip(SKIP_1) | instid1(VALU_DEP_4)
	v_add_f64 v[0:1], v[20:21], v[0:1]
	v_fma_f64 v[20:21], v[173:174], s[20:21], -v[237:238]
	v_add_f64 v[2:3], v[22:23], v[2:3]
	v_fma_f64 v[22:23], v[183:184], s[30:31], v[239:240]
	s_delay_alu instid0(VALU_DEP_4) | instskip(SKIP_1) | instid1(VALU_DEP_4)
	v_add_f64 v[0:1], v[24:25], v[0:1]
	v_fma_f64 v[24:25], v[177:178], s[30:31], -v[241:242]
	v_add_f64 v[2:3], v[20:21], v[2:3]
	s_delay_alu instid0(VALU_DEP_3)
	v_add_f64 v[122:123], v[22:23], v[0:1]
	s_clause 0x1
	scratch_load_b32 v0, off, off offset:312
	scratch_load_b32 v1, off, off
	v_add_f64 v[120:121], v[24:25], v[2:3]
	s_waitcnt vmcnt(1)
	v_and_b32_e32 v0, 0xffff, v0
	s_waitcnt vmcnt(0)
	s_delay_alu instid0(VALU_DEP_1)
	v_lshl_add_u32 v0, v0, 4, v1
	scratch_load_b128 v[1:4], off, off offset:4 ; 16-byte Folded Reload
	s_waitcnt vmcnt(0)
	ds_store_b128 v0, v[1:4]
	ds_store_b128 v0, v[16:19] offset:16
	ds_store_b128 v0, v[84:87] offset:32
	;; [unrolled: 1-line block ×16, first 2 shown]
.LBB0_17:
	s_or_b32 exec_lo, exec_lo, s1
	s_waitcnt lgkmcnt(0)
	s_waitcnt_vscnt null, 0x0
	s_barrier
	buffer_gl0_inv
	ds_load_b128 v[4:7], v211
	ds_load_b128 v[8:11], v211 offset:544
	ds_load_b128 v[84:87], v211 offset:3536
	;; [unrolled: 1-line block ×9, first 2 shown]
	s_and_saveexec_b32 s1, s0
	s_cbranch_execz .LBB0_19
; %bb.18:
	ds_load_b128 v[136:139], v211 offset:2720
	ds_load_b128 v[132:135], v211 offset:5712
.LBB0_19:
	s_or_b32 exec_lo, exec_lo, s1
	s_clause 0x3
	scratch_load_b128 v[40:43], off, off offset:76
	scratch_load_b128 v[50:53], off, off offset:60
	scratch_load_b128 v[104:107], off, off offset:124
	scratch_load_b128 v[46:49], off, off offset:108
	s_waitcnt vmcnt(3) lgkmcnt(3)
	v_mul_f64 v[20:21], v[42:43], v[102:103]
	v_mul_f64 v[22:23], v[42:43], v[100:101]
	scratch_load_b128 v[42:45], off, off offset:92 ; 16-byte Folded Reload
	s_waitcnt vmcnt(0) lgkmcnt(0)
	s_barrier
	buffer_gl0_inv
	v_mul_f64 v[32:33], v[52:53], v[98:99]
	v_mul_f64 v[34:35], v[52:53], v[96:97]
	;; [unrolled: 1-line block ×6, first 2 shown]
	v_fma_f64 v[20:21], v[40:41], v[100:101], v[20:21]
	v_fma_f64 v[22:23], v[40:41], v[102:103], -v[22:23]
	v_fma_f64 v[48:49], v[50:51], v[96:97], v[32:33]
	v_fma_f64 v[50:51], v[50:51], v[98:99], -v[34:35]
	;; [unrolled: 2-line block ×3, first 2 shown]
	s_delay_alu instid0(VALU_DEP_4) | instskip(NEXT) | instid1(VALU_DEP_4)
	v_add_f64 v[36:37], v[12:13], -v[48:49]
	v_add_f64 v[38:39], v[14:15], -v[50:51]
	s_delay_alu instid0(VALU_DEP_2) | instskip(NEXT) | instid1(VALU_DEP_2)
	v_fma_f64 v[12:13], v[12:13], 2.0, -v[36:37]
	v_fma_f64 v[14:15], v[14:15], 2.0, -v[38:39]
	v_mul_f64 v[24:25], v[44:45], v[86:87]
	v_mul_f64 v[26:27], v[44:45], v[84:85]
	v_fma_f64 v[44:45], v[46:47], v[88:89], v[28:29]
	v_fma_f64 v[46:47], v[46:47], v[90:91], -v[30:31]
	s_delay_alu instid0(VALU_DEP_4)
	v_fma_f64 v[40:41], v[42:43], v[84:85], v[24:25]
	v_add_f64 v[24:25], v[4:5], -v[20:21]
	scratch_load_b32 v20, off, off offset:220 ; 4-byte Folded Reload
	v_fma_f64 v[42:43], v[42:43], v[86:87], -v[26:27]
	v_add_f64 v[26:27], v[6:7], -v[22:23]
	v_add_f64 v[32:33], v[16:17], -v[44:45]
	v_add_f64 v[34:35], v[18:19], -v[46:47]
	v_add_f64 v[28:29], v[8:9], -v[40:41]
	v_fma_f64 v[4:5], v[4:5], 2.0, -v[24:25]
	v_add_f64 v[40:41], v[0:1], -v[52:53]
	v_add_f64 v[30:31], v[10:11], -v[42:43]
	v_fma_f64 v[6:7], v[6:7], 2.0, -v[26:27]
	v_add_f64 v[42:43], v[2:3], -v[54:55]
	v_fma_f64 v[16:17], v[16:17], 2.0, -v[32:33]
	v_fma_f64 v[18:19], v[18:19], 2.0, -v[34:35]
	s_waitcnt vmcnt(0)
	ds_store_b128 v20, v[4:7]
	ds_store_b128 v20, v[24:27] offset:272
	scratch_load_b32 v4, off, off offset:212 ; 4-byte Folded Reload
	v_fma_f64 v[8:9], v[8:9], 2.0, -v[28:29]
	v_fma_f64 v[10:11], v[10:11], 2.0, -v[30:31]
	;; [unrolled: 1-line block ×4, first 2 shown]
	s_waitcnt vmcnt(0)
	ds_store_b128 v4, v[8:11]
	ds_store_b128 v4, v[28:31] offset:272
	scratch_load_b32 v4, off, off offset:204 ; 4-byte Folded Reload
	s_waitcnt vmcnt(0)
	ds_store_b128 v4, v[16:19]
	ds_store_b128 v4, v[32:35] offset:272
	scratch_load_b32 v4, off, off offset:196 ; 4-byte Folded Reload
	;; [unrolled: 4-line block ×3, first 2 shown]
	s_waitcnt vmcnt(0)
	ds_store_b128 v4, v[0:3]
	ds_store_b128 v4, v[40:43] offset:272
	s_and_saveexec_b32 s1, s0
	s_cbranch_execz .LBB0_21
; %bb.20:
	s_clause 0x2
	scratch_load_b128 v[4:7], off, off offset:316
	scratch_load_b32 v8, off, off
	scratch_load_b32 v9, off, off offset:52
	s_waitcnt vmcnt(2)
	v_mul_f64 v[0:1], v[6:7], v[132:133]
	v_mul_f64 v[2:3], v[6:7], v[134:135]
	s_waitcnt vmcnt(0)
	v_lshl_add_u32 v8, v9, 4, v8
	s_delay_alu instid0(VALU_DEP_3) | instskip(NEXT) | instid1(VALU_DEP_3)
	v_fma_f64 v[0:1], v[4:5], v[134:135], -v[0:1]
	v_fma_f64 v[4:5], v[4:5], v[132:133], v[2:3]
	s_delay_alu instid0(VALU_DEP_2) | instskip(NEXT) | instid1(VALU_DEP_2)
	v_add_f64 v[2:3], v[138:139], -v[0:1]
	v_add_f64 v[0:1], v[136:137], -v[4:5]
	s_delay_alu instid0(VALU_DEP_2) | instskip(NEXT) | instid1(VALU_DEP_2)
	v_fma_f64 v[6:7], v[138:139], 2.0, -v[2:3]
	v_fma_f64 v[4:5], v[136:137], 2.0, -v[0:1]
	ds_store_b128 v8, v[4:7] offset:5440
	ds_store_b128 v8, v[0:3] offset:5712
.LBB0_21:
	s_or_b32 exec_lo, exec_lo, s1
	s_waitcnt lgkmcnt(0)
	s_barrier
	buffer_gl0_inv
	ds_load_b128 v[0:3], v211 offset:544
	ds_load_b128 v[8:11], v211 offset:5440
	;; [unrolled: 1-line block ×5, first 2 shown]
	scratch_load_b128 v[96:99], off, off offset:140 ; 16-byte Folded Reload
	ds_load_b128 v[24:27], v211 offset:4352
	ds_load_b128 v[28:31], v211 offset:2176
	;; [unrolled: 1-line block ×4, first 2 shown]
	s_clause 0x5
	scratch_load_b128 v[64:67], off, off offset:244
	scratch_load_b128 v[104:107], off, off offset:172
	;; [unrolled: 1-line block ×6, first 2 shown]
	ds_load_b128 v[40:43], v211 offset:3264
	s_mov_b32 s0, 0xf8bb580b
	s_mov_b32 s2, 0x8764f0ba
	;; [unrolled: 1-line block ×9, first 2 shown]
	s_waitcnt lgkmcnt(9)
	v_mul_f64 v[4:5], v[58:59], v[2:3]
	v_mul_f64 v[6:7], v[58:59], v[0:1]
	s_waitcnt lgkmcnt(2)
	v_mul_f64 v[92:93], v[82:83], v[34:35]
	v_mul_f64 v[82:83], v[82:83], v[32:33]
	s_mov_b32 s22, 0x640f44db
	s_mov_b32 s21, 0xbfefac9e
	s_mov_b32 s23, 0xbfc2375f
	s_mov_b32 s26, 0xbb3a28a1
	s_mov_b32 s28, 0x7f775887
	s_mov_b32 s27, 0xbfe82f19
	s_mov_b32 s29, 0xbfe4f49e
	s_mov_b32 s34, 0xfd768dbf
	s_mov_b32 s36, 0x9bcd5057
	s_mov_b32 s35, 0xbfd207e7
	s_mov_b32 s37, 0xbfeeb42a
	s_mov_b32 s9, 0x3fe14ced
	s_mov_b32 s19, 0x3fed1bb4
	s_mov_b32 s8, s0
	s_mov_b32 s18, s10
	s_mov_b32 s25, 0x3fefac9e
	s_mov_b32 s39, 0x3fd207e7
	s_mov_b32 s24, s20
	s_mov_b32 s38, s34
	s_mov_b32 s31, 0x3fe82f19
	s_mov_b32 s30, s26
	s_delay_alu instid0(VALU_DEP_4) | instskip(NEXT) | instid1(VALU_DEP_4)
	v_fma_f64 v[52:53], v[56:57], v[0:1], v[4:5]
	v_fma_f64 v[54:55], v[56:57], v[2:3], -v[6:7]
	ds_load_b128 v[0:3], v211
	scratch_load_b128 v[56:59], off, off offset:228 ; 16-byte Folded Reload
	s_waitcnt vmcnt(7)
	v_mul_f64 v[44:45], v[98:99], v[8:9]
	s_waitcnt vmcnt(6)
	v_mul_f64 v[46:47], v[66:67], v[12:13]
	;; [unrolled: 2-line block ×3, first 2 shown]
	v_mul_f64 v[50:51], v[66:67], v[14:15]
	s_waitcnt vmcnt(4)
	v_mul_f64 v[62:63], v[102:103], v[24:25]
	v_mul_f64 v[84:85], v[106:107], v[18:19]
	;; [unrolled: 1-line block ×3, first 2 shown]
	s_waitcnt vmcnt(2) lgkmcnt(2)
	v_mul_f64 v[90:91], v[74:75], v[38:39]
	s_waitcnt vmcnt(1) lgkmcnt(1)
	v_mul_f64 v[94:95], v[78:79], v[42:43]
	v_mul_f64 v[78:79], v[78:79], v[40:41]
	;; [unrolled: 1-line block ×6, first 2 shown]
	v_fma_f64 v[4:5], v[96:97], v[10:11], -v[44:45]
	v_fma_f64 v[44:45], v[64:65], v[14:15], -v[46:47]
	v_fma_f64 v[6:7], v[104:105], v[18:19], -v[48:49]
	v_fma_f64 v[18:19], v[64:65], v[12:13], v[50:51]
	s_waitcnt lgkmcnt(0)
	v_add_f64 v[46:47], v[0:1], v[52:53]
	v_add_f64 v[48:49], v[2:3], v[54:55]
	v_fma_f64 v[12:13], v[100:101], v[26:27], -v[62:63]
	v_fma_f64 v[14:15], v[100:101], v[24:25], v[88:89]
	v_fma_f64 v[26:27], v[72:73], v[36:37], v[90:91]
	v_fma_f64 v[36:37], v[76:77], v[42:43], -v[78:79]
	v_fma_f64 v[8:9], v[96:97], v[8:9], v[66:67]
	v_fma_f64 v[10:11], v[104:105], v[16:17], v[84:85]
	;; [unrolled: 1-line block ×3, first 2 shown]
	v_fma_f64 v[24:25], v[68:69], v[30:31], -v[70:71]
	v_fma_f64 v[28:29], v[72:73], v[38:39], -v[74:75]
	v_fma_f64 v[30:31], v[80:81], v[32:33], v[92:93]
	v_fma_f64 v[32:33], v[80:81], v[34:35], -v[82:83]
	v_fma_f64 v[34:35], v[76:77], v[40:41], v[94:95]
	s_waitcnt vmcnt(0)
	v_mul_f64 v[60:61], v[58:59], v[20:21]
	v_mul_f64 v[58:59], v[58:59], v[22:23]
	v_add_f64 v[38:39], v[54:55], -v[4:5]
	v_add_f64 v[40:41], v[54:55], v[4:5]
	v_add_f64 v[42:43], v[44:45], -v[6:7]
	v_add_f64 v[50:51], v[44:45], v[6:7]
	v_add_f64 v[46:47], v[46:47], v[18:19]
	;; [unrolled: 1-line block ×4, first 2 shown]
	v_add_f64 v[70:71], v[16:17], -v[26:27]
	v_add_f64 v[66:67], v[24:25], v[28:29]
	v_add_f64 v[68:69], v[24:25], -v[28:29]
	v_add_f64 v[74:75], v[32:33], v[36:37]
	v_add_f64 v[72:73], v[30:31], v[34:35]
	v_add_f64 v[76:77], v[30:31], -v[34:35]
	v_add_f64 v[78:79], v[32:33], -v[36:37]
	v_fma_f64 v[22:23], v[56:57], v[22:23], -v[60:61]
	v_fma_f64 v[20:21], v[56:57], v[20:21], v[58:59]
	v_add_f64 v[56:57], v[52:53], v[8:9]
	v_add_f64 v[52:53], v[52:53], -v[8:9]
	v_add_f64 v[58:59], v[18:19], v[10:11]
	v_add_f64 v[18:19], v[18:19], -v[10:11]
	v_mul_f64 v[80:81], v[38:39], s[0:1]
	v_mul_f64 v[82:83], v[40:41], s[2:3]
	;; [unrolled: 1-line block ×21, first 2 shown]
	v_add_f64 v[48:49], v[22:23], -v[12:13]
	v_add_f64 v[54:55], v[22:23], v[12:13]
	v_add_f64 v[60:61], v[20:21], v[14:15]
	v_add_f64 v[62:63], v[20:21], -v[14:15]
	v_add_f64 v[20:21], v[46:47], v[20:21]
	v_add_f64 v[22:23], v[44:45], v[22:23]
	v_mul_f64 v[44:45], v[50:51], s[28:29]
	v_mul_f64 v[46:47], v[42:43], s[38:39]
	;; [unrolled: 1-line block ×13, first 2 shown]
	v_fma_f64 v[157:158], v[56:57], s[16:17], v[84:85]
	v_fma_f64 v[159:160], v[52:53], s[18:19], v[86:87]
	v_fma_f64 v[84:85], v[56:57], s[16:17], -v[84:85]
	v_fma_f64 v[161:162], v[56:57], s[22:23], v[88:89]
	v_fma_f64 v[163:164], v[52:53], s[24:25], v[90:91]
	v_fma_f64 v[88:89], v[56:57], s[22:23], -v[88:89]
	v_fma_f64 v[165:166], v[56:57], s[28:29], v[92:93]
	v_fma_f64 v[167:168], v[52:53], s[30:31], v[94:95]
	v_fma_f64 v[92:93], v[56:57], s[28:29], -v[92:93]
	v_fma_f64 v[169:170], v[56:57], s[36:37], v[38:39]
	v_fma_f64 v[171:172], v[52:53], s[38:39], v[40:41]
	v_fma_f64 v[38:39], v[56:57], s[36:37], -v[38:39]
	v_fma_f64 v[40:41], v[52:53], s[34:35], v[40:41]
	v_fma_f64 v[94:95], v[52:53], s[26:27], v[94:95]
	;; [unrolled: 1-line block ×5, first 2 shown]
	v_fma_f64 v[100:101], v[58:59], s[28:29], -v[100:101]
	v_fma_f64 v[179:180], v[18:19], s[34:35], v[102:103]
	v_mul_f64 v[108:109], v[48:49], s[20:21]
	v_mul_f64 v[110:111], v[54:55], s[22:23]
	;; [unrolled: 1-line block ×4, first 2 shown]
	v_add_f64 v[16:17], v[20:21], v[16:17]
	v_add_f64 v[20:21], v[22:23], v[24:25]
	v_mul_f64 v[22:23], v[74:75], s[22:23]
	v_fma_f64 v[24:25], v[56:57], s[2:3], v[80:81]
	v_fma_f64 v[74:75], v[52:53], s[8:9], v[82:83]
	v_fma_f64 v[80:81], v[56:57], s[2:3], -v[80:81]
	v_fma_f64 v[82:83], v[52:53], s[0:1], v[82:83]
	v_fma_f64 v[52:53], v[58:59], s[16:17], v[96:97]
	v_fma_f64 v[56:57], v[18:19], s[18:19], v[98:99]
	v_fma_f64 v[96:97], v[58:59], s[16:17], -v[96:97]
	v_fma_f64 v[98:99], v[18:19], s[10:11], v[98:99]
	v_fma_f64 v[175:176], v[18:19], s[30:31], v[44:45]
	v_mul_f64 v[116:117], v[48:49], s[18:19]
	v_mul_f64 v[118:119], v[54:55], s[16:17]
	v_fma_f64 v[177:178], v[58:59], s[36:37], v[46:47]
	v_add_f64 v[157:158], v[0:1], v[157:158]
	v_add_f64 v[159:160], v[2:3], v[159:160]
	;; [unrolled: 1-line block ×5, first 2 shown]
	v_mul_f64 v[120:121], v[48:49], s[0:1]
	v_mul_f64 v[122:123], v[54:55], s[2:3]
	v_fma_f64 v[46:47], v[58:59], s[36:37], -v[46:47]
	v_fma_f64 v[181:182], v[58:59], s[22:23], v[104:105]
	v_fma_f64 v[183:184], v[18:19], s[20:21], v[106:107]
	v_add_f64 v[88:89], v[0:1], v[88:89]
	v_add_f64 v[165:166], v[0:1], v[165:166]
	;; [unrolled: 1-line block ×3, first 2 shown]
	v_mul_f64 v[48:49], v[48:49], s[26:27]
	v_mul_f64 v[54:55], v[54:55], s[28:29]
	v_fma_f64 v[104:105], v[58:59], s[22:23], -v[104:105]
	v_add_f64 v[92:93], v[0:1], v[92:93]
	v_add_f64 v[169:170], v[0:1], v[169:170]
	;; [unrolled: 1-line block ×3, first 2 shown]
	v_fma_f64 v[44:45], v[18:19], s[26:27], v[44:45]
	v_fma_f64 v[102:103], v[18:19], s[38:39], v[102:103]
	v_add_f64 v[90:91], v[2:3], v[90:91]
	v_add_f64 v[86:87], v[2:3], v[86:87]
	;; [unrolled: 1-line block ×4, first 2 shown]
	v_fma_f64 v[30:31], v[18:19], s[24:25], v[106:107]
	v_add_f64 v[24:25], v[0:1], v[24:25]
	v_fma_f64 v[32:33], v[58:59], s[2:3], v[42:43]
	v_add_f64 v[80:81], v[0:1], v[80:81]
	v_add_f64 v[82:83], v[2:3], v[82:83]
	v_fma_f64 v[106:107], v[18:19], s[0:1], v[50:51]
	v_fma_f64 v[42:43], v[58:59], s[2:3], -v[42:43]
	v_fma_f64 v[18:19], v[18:19], s[8:9], v[50:51]
	v_add_f64 v[0:1], v[0:1], v[38:39]
	v_add_f64 v[38:39], v[2:3], v[40:41]
	;; [unrolled: 1-line block ×4, first 2 shown]
	v_fma_f64 v[50:51], v[60:61], s[22:23], v[108:109]
	v_fma_f64 v[58:59], v[62:63], s[24:25], v[110:111]
	v_fma_f64 v[108:109], v[60:61], s[22:23], -v[108:109]
	v_fma_f64 v[110:111], v[62:63], s[20:21], v[110:111]
	v_fma_f64 v[185:186], v[60:61], s[36:37], v[112:113]
	;; [unrolled: 1-line block ×5, first 2 shown]
	v_add_f64 v[84:85], v[100:101], v[84:85]
	v_add_f64 v[100:101], v[179:180], v[163:164]
	v_fma_f64 v[116:117], v[60:61], s[16:17], -v[116:117]
	v_add_f64 v[46:47], v[46:47], v[88:89]
	v_add_f64 v[88:89], v[181:182], v[165:166]
	v_fma_f64 v[74:75], v[60:61], s[2:3], -v[120:121]
	v_fma_f64 v[94:95], v[62:63], s[0:1], v[122:123]
	v_fma_f64 v[118:119], v[62:63], s[18:19], v[118:119]
	v_fma_f64 v[112:113], v[60:61], s[36:37], -v[112:113]
	v_add_f64 v[92:93], v[104:105], v[92:93]
	v_fma_f64 v[114:115], v[62:63], s[38:39], v[114:115]
	v_mul_f64 v[145:146], v[78:79], s[8:9]
	v_fma_f64 v[193:194], v[64:65], s[22:23], v[128:129]
	v_fma_f64 v[195:196], v[70:71], s[20:21], v[130:131]
	v_mul_f64 v[141:142], v[78:79], s[34:35]
	v_mul_f64 v[149:150], v[78:79], s[26:27]
	v_add_f64 v[16:17], v[16:17], v[34:35]
	v_add_f64 v[20:21], v[20:21], v[36:37]
	v_fma_f64 v[34:35], v[60:61], s[2:3], v[120:121]
	v_add_f64 v[24:25], v[52:53], v[24:25]
	v_fma_f64 v[36:37], v[62:63], s[8:9], v[122:123]
	v_add_f64 v[52:53], v[96:97], v[80:81]
	v_add_f64 v[80:81], v[98:99], v[82:83]
	;; [unrolled: 1-line block ×6, first 2 shown]
	v_fma_f64 v[120:121], v[60:61], s[28:29], v[48:49]
	v_fma_f64 v[122:123], v[62:63], s[30:31], v[54:55]
	v_add_f64 v[32:33], v[32:33], v[169:170]
	v_add_f64 v[104:105], v[106:107], v[171:172]
	v_fma_f64 v[48:49], v[60:61], s[28:29], -v[48:49]
	v_fma_f64 v[54:55], v[62:63], s[26:27], v[54:55]
	v_add_f64 v[0:1], v[42:43], v[0:1]
	v_add_f64 v[18:19], v[18:19], v[38:39]
	;; [unrolled: 1-line block ×6, first 2 shown]
	v_fma_f64 v[60:61], v[64:65], s[28:29], v[124:125]
	v_fma_f64 v[62:63], v[70:71], s[30:31], v[126:127]
	v_fma_f64 v[124:125], v[64:65], s[28:29], -v[124:125]
	v_fma_f64 v[126:127], v[70:71], s[26:27], v[126:127]
	v_mul_f64 v[153:154], v[78:79], s[18:19]
	v_fma_f64 v[56:57], v[64:65], s[36:37], v[136:137]
	v_fma_f64 v[86:87], v[70:71], s[38:39], v[138:139]
	v_mul_f64 v[78:79], v[78:79], s[20:21]
	v_fma_f64 v[42:43], v[64:65], s[2:3], -v[132:133]
	v_fma_f64 v[90:91], v[64:65], s[36:37], -v[136:137]
	v_fma_f64 v[106:107], v[64:65], s[16:17], v[68:69]
	v_add_f64 v[46:47], v[116:117], v[46:47]
	v_add_f64 v[74:75], v[74:75], v[92:93]
	v_fma_f64 v[128:129], v[64:65], s[22:23], -v[128:129]
	v_fma_f64 v[102:103], v[70:71], s[34:35], v[138:139]
	v_add_f64 v[16:17], v[16:17], v[26:27]
	v_add_f64 v[20:21], v[20:21], v[28:29]
	v_fma_f64 v[26:27], v[64:65], s[2:3], v[132:133]
	v_add_f64 v[24:25], v[50:51], v[24:25]
	v_fma_f64 v[28:29], v[70:71], s[8:9], v[134:135]
	v_add_f64 v[50:51], v[108:109], v[52:53]
	v_add_f64 v[52:53], v[110:111], v[80:81]
	v_add_f64 v[80:81], v[185:186], v[82:83]
	v_add_f64 v[82:83], v[187:188], v[96:97]
	v_add_f64 v[96:97], v[189:190], v[98:99]
	v_add_f64 v[98:99], v[191:192], v[100:101]
	v_add_f64 v[34:35], v[34:35], v[88:89]
	v_add_f64 v[36:37], v[36:37], v[157:158]
	v_fma_f64 v[132:133], v[70:71], s[10:11], v[66:67]
	v_add_f64 v[32:33], v[120:121], v[32:33]
	v_add_f64 v[88:89], v[122:123], v[104:105]
	v_fma_f64 v[64:65], v[64:65], s[16:17], -v[68:69]
	v_fma_f64 v[66:67], v[70:71], s[18:19], v[66:67]
	v_add_f64 v[0:1], v[48:49], v[0:1]
	v_add_f64 v[18:19], v[54:55], v[18:19]
	;; [unrolled: 1-line block ×3, first 2 shown]
	v_fma_f64 v[44:45], v[70:71], s[0:1], v[134:135]
	v_add_f64 v[38:39], v[118:119], v[38:39]
	v_fma_f64 v[130:131], v[70:71], s[24:25], v[130:131]
	v_add_f64 v[84:85], v[112:113], v[84:85]
	v_add_f64 v[40:41], v[114:115], v[40:41]
	;; [unrolled: 1-line block ×3, first 2 shown]
	v_fma_f64 v[70:71], v[76:77], s[38:39], v[143:144]
	v_fma_f64 v[136:137], v[76:77], s[34:35], v[143:144]
	v_fma_f64 v[54:55], v[76:77], s[8:9], v[147:148]
	v_fma_f64 v[92:93], v[76:77], s[30:31], v[151:152]
	v_fma_f64 v[100:101], v[76:77], s[26:27], v[151:152]
	v_fma_f64 v[108:109], v[76:77], s[10:11], v[155:156]
	v_fma_f64 v[112:113], v[76:77], s[18:19], v[155:156]
	v_fma_f64 v[116:117], v[76:77], s[24:25], v[22:23]
	v_fma_f64 v[68:69], v[72:73], s[36:37], v[141:142]
	v_fma_f64 v[134:135], v[72:73], s[36:37], -v[141:142]
	v_fma_f64 v[58:59], v[72:73], s[28:29], v[149:150]
	v_add_f64 v[14:15], v[16:17], v[14:15]
	v_add_f64 v[12:13], v[20:21], v[12:13]
	v_fma_f64 v[16:17], v[72:73], s[2:3], v[145:146]
	v_fma_f64 v[20:21], v[76:77], s[0:1], v[147:148]
	;; [unrolled: 1-line block ×3, first 2 shown]
	v_add_f64 v[22:23], v[60:61], v[24:25]
	v_add_f64 v[24:25], v[124:125], v[50:51]
	;; [unrolled: 1-line block ×7, first 2 shown]
	v_fma_f64 v[104:105], v[72:73], s[16:17], v[153:154]
	v_add_f64 v[34:35], v[56:57], v[34:35]
	v_add_f64 v[36:37], v[86:87], v[36:37]
	v_fma_f64 v[114:115], v[72:73], s[22:23], v[78:79]
	v_add_f64 v[42:43], v[42:43], v[46:47]
	v_add_f64 v[46:47], v[90:91], v[74:75]
	;; [unrolled: 1-line block ×4, first 2 shown]
	v_fma_f64 v[48:49], v[72:73], s[2:3], -v[145:146]
	v_fma_f64 v[94:95], v[72:73], s[28:29], -v[149:150]
	v_fma_f64 v[110:111], v[72:73], s[16:17], -v[153:154]
	v_fma_f64 v[72:73], v[72:73], s[22:23], -v[78:79]
	v_add_f64 v[64:65], v[64:65], v[0:1]
	v_add_f64 v[66:67], v[66:67], v[18:19]
	;; [unrolled: 1-line block ×31, first 2 shown]
	ds_store_b128 v212, v[14:17] offset:1088
	ds_store_b128 v212, v[22:25] offset:1632
	;; [unrolled: 1-line block ×9, first 2 shown]
	ds_store_b128 v212, v[6:9]
	ds_store_b128 v212, v[0:3] offset:544
	s_waitcnt lgkmcnt(0)
	s_barrier
	buffer_gl0_inv
	s_and_b32 exec_lo, exec_lo, vcc_lo
	s_cbranch_execz .LBB0_23
; %bb.22:
	v_lshlrev_b32_e32 v18, 4, v255
	s_mov_b32 s0, 0xb8d015e7
	s_mov_b32 s1, 0x3f65e75b
	s_mul_i32 s2, s5, 0x160
	s_mul_i32 s3, s4, 0x160
	global_load_b128 v[0:3], v18, s[12:13]
	ds_load_b128 v[4:7], v212
	ds_load_b128 v[8:11], v212 offset:352
	s_waitcnt vmcnt(0) lgkmcnt(1)
	v_mul_f64 v[12:13], v[6:7], v[2:3]
	v_mul_f64 v[2:3], v[4:5], v[2:3]
	s_delay_alu instid0(VALU_DEP_2) | instskip(NEXT) | instid1(VALU_DEP_2)
	v_fma_f64 v[4:5], v[4:5], v[0:1], v[12:13]
	v_fma_f64 v[0:1], v[0:1], v[6:7], -v[2:3]
	v_mad_u64_u32 v[6:7], null, s6, v140, 0
	v_mad_u64_u32 v[12:13], null, s4, v255, 0
	s_mul_hi_u32 s6, s4, 0x160
	s_delay_alu instid0(SALU_CYCLE_1) | instskip(NEXT) | instid1(VALU_DEP_4)
	s_add_i32 s2, s6, s2
	v_mul_f64 v[2:3], v[4:5], s[0:1]
	s_delay_alu instid0(VALU_DEP_4) | instskip(NEXT) | instid1(VALU_DEP_3)
	v_mul_f64 v[4:5], v[0:1], s[0:1]
	v_dual_mov_b32 v1, v13 :: v_dual_mov_b32 v0, v7
	s_delay_alu instid0(VALU_DEP_1) | instskip(NEXT) | instid1(VALU_DEP_1)
	v_mad_u64_u32 v[13:14], null, s7, v140, v[0:1]
	v_mov_b32_e32 v7, v13
	v_mad_u64_u32 v[14:15], null, s5, v255, v[1:2]
	s_delay_alu instid0(VALU_DEP_2) | instskip(NEXT) | instid1(VALU_DEP_1)
	v_lshlrev_b64 v[0:1], 4, v[6:7]
	v_add_co_u32 v0, vcc_lo, s14, v0
	s_delay_alu instid0(VALU_DEP_3) | instskip(NEXT) | instid1(VALU_DEP_3)
	v_mov_b32_e32 v13, v14
	v_add_co_ci_u32_e32 v1, vcc_lo, s15, v1, vcc_lo
	s_delay_alu instid0(VALU_DEP_2) | instskip(NEXT) | instid1(VALU_DEP_1)
	v_lshlrev_b64 v[6:7], 4, v[12:13]
	v_add_co_u32 v6, vcc_lo, v0, v6
	s_delay_alu instid0(VALU_DEP_2) | instskip(NEXT) | instid1(VALU_DEP_2)
	v_add_co_ci_u32_e32 v7, vcc_lo, v1, v7, vcc_lo
	v_add_co_u32 v14, vcc_lo, v6, s3
	global_store_b128 v[6:7], v[2:5], off
	global_load_b128 v[2:5], v18, s[12:13] offset:352
	v_add_co_ci_u32_e32 v15, vcc_lo, s2, v7, vcc_lo
	s_waitcnt vmcnt(0) lgkmcnt(0)
	v_mul_f64 v[12:13], v[10:11], v[4:5]
	v_mul_f64 v[4:5], v[8:9], v[4:5]
	s_delay_alu instid0(VALU_DEP_2) | instskip(NEXT) | instid1(VALU_DEP_2)
	v_fma_f64 v[8:9], v[8:9], v[2:3], v[12:13]
	v_fma_f64 v[4:5], v[2:3], v[10:11], -v[4:5]
	s_delay_alu instid0(VALU_DEP_2) | instskip(NEXT) | instid1(VALU_DEP_2)
	v_mul_f64 v[2:3], v[8:9], s[0:1]
	v_mul_f64 v[4:5], v[4:5], s[0:1]
	global_store_b128 v[14:15], v[2:5], off
	global_load_b128 v[2:5], v18, s[12:13] offset:704
	ds_load_b128 v[6:9], v212 offset:704
	ds_load_b128 v[10:13], v212 offset:1056
	s_waitcnt vmcnt(0) lgkmcnt(1)
	v_mul_f64 v[16:17], v[8:9], v[4:5]
	v_mul_f64 v[4:5], v[6:7], v[4:5]
	s_delay_alu instid0(VALU_DEP_2) | instskip(NEXT) | instid1(VALU_DEP_2)
	v_fma_f64 v[6:7], v[6:7], v[2:3], v[16:17]
	v_fma_f64 v[4:5], v[2:3], v[8:9], -v[4:5]
	s_delay_alu instid0(VALU_DEP_2) | instskip(NEXT) | instid1(VALU_DEP_2)
	v_mul_f64 v[2:3], v[6:7], s[0:1]
	v_mul_f64 v[4:5], v[4:5], s[0:1]
	v_add_co_u32 v6, vcc_lo, v14, s3
	v_add_co_ci_u32_e32 v7, vcc_lo, s2, v15, vcc_lo
	s_delay_alu instid0(VALU_DEP_2) | instskip(NEXT) | instid1(VALU_DEP_2)
	v_add_co_u32 v14, vcc_lo, v6, s3
	v_add_co_ci_u32_e32 v15, vcc_lo, s2, v7, vcc_lo
	global_store_b128 v[6:7], v[2:5], off
	global_load_b128 v[2:5], v18, s[12:13] offset:1056
	s_waitcnt vmcnt(0) lgkmcnt(0)
	v_mul_f64 v[8:9], v[12:13], v[4:5]
	v_mul_f64 v[4:5], v[10:11], v[4:5]
	s_delay_alu instid0(VALU_DEP_2) | instskip(NEXT) | instid1(VALU_DEP_2)
	v_fma_f64 v[8:9], v[10:11], v[2:3], v[8:9]
	v_fma_f64 v[4:5], v[2:3], v[12:13], -v[4:5]
	s_delay_alu instid0(VALU_DEP_2) | instskip(NEXT) | instid1(VALU_DEP_2)
	v_mul_f64 v[2:3], v[8:9], s[0:1]
	v_mul_f64 v[4:5], v[4:5], s[0:1]
	global_store_b128 v[14:15], v[2:5], off
	global_load_b128 v[2:5], v18, s[12:13] offset:1408
	ds_load_b128 v[6:9], v212 offset:1408
	ds_load_b128 v[10:13], v212 offset:1760
	s_waitcnt vmcnt(0) lgkmcnt(1)
	v_mul_f64 v[16:17], v[8:9], v[4:5]
	v_mul_f64 v[4:5], v[6:7], v[4:5]
	s_delay_alu instid0(VALU_DEP_2) | instskip(NEXT) | instid1(VALU_DEP_2)
	v_fma_f64 v[6:7], v[6:7], v[2:3], v[16:17]
	v_fma_f64 v[4:5], v[2:3], v[8:9], -v[4:5]
	s_delay_alu instid0(VALU_DEP_2) | instskip(NEXT) | instid1(VALU_DEP_2)
	v_mul_f64 v[2:3], v[6:7], s[0:1]
	v_mul_f64 v[4:5], v[4:5], s[0:1]
	v_add_co_u32 v6, vcc_lo, v14, s3
	v_add_co_ci_u32_e32 v7, vcc_lo, s2, v15, vcc_lo
	s_delay_alu instid0(VALU_DEP_2) | instskip(NEXT) | instid1(VALU_DEP_2)
	v_add_co_u32 v14, vcc_lo, v6, s3
	v_add_co_ci_u32_e32 v15, vcc_lo, s2, v7, vcc_lo
	global_store_b128 v[6:7], v[2:5], off
	global_load_b128 v[2:5], v18, s[12:13] offset:1760
	;; [unrolled: 29-line block ×5, first 2 shown]
	s_waitcnt vmcnt(0) lgkmcnt(0)
	v_mul_f64 v[8:9], v[12:13], v[4:5]
	v_mul_f64 v[4:5], v[10:11], v[4:5]
	s_delay_alu instid0(VALU_DEP_2) | instskip(NEXT) | instid1(VALU_DEP_2)
	v_fma_f64 v[8:9], v[10:11], v[2:3], v[8:9]
	v_fma_f64 v[4:5], v[2:3], v[12:13], -v[4:5]
	s_delay_alu instid0(VALU_DEP_2) | instskip(NEXT) | instid1(VALU_DEP_2)
	v_mul_f64 v[2:3], v[8:9], s[0:1]
	v_mul_f64 v[4:5], v[4:5], s[0:1]
	v_add_co_u32 v8, s6, s12, v18
	s_delay_alu instid0(VALU_DEP_1) | instskip(NEXT) | instid1(VALU_DEP_2)
	v_add_co_ci_u32_e64 v9, null, s13, 0, s6
	v_add_co_u32 v16, vcc_lo, 0x1000, v8
	s_delay_alu instid0(VALU_DEP_2)
	v_add_co_ci_u32_e32 v17, vcc_lo, 0, v9, vcc_lo
	global_store_b128 v[14:15], v[2:5], off
	global_load_b128 v[2:5], v[16:17], off offset:128
	ds_load_b128 v[6:9], v212 offset:4224
	ds_load_b128 v[10:13], v212 offset:4576
	s_waitcnt vmcnt(0) lgkmcnt(1)
	v_mul_f64 v[18:19], v[8:9], v[4:5]
	v_mul_f64 v[4:5], v[6:7], v[4:5]
	s_delay_alu instid0(VALU_DEP_2) | instskip(NEXT) | instid1(VALU_DEP_2)
	v_fma_f64 v[6:7], v[6:7], v[2:3], v[18:19]
	v_fma_f64 v[4:5], v[2:3], v[8:9], -v[4:5]
	s_delay_alu instid0(VALU_DEP_2) | instskip(NEXT) | instid1(VALU_DEP_2)
	v_mul_f64 v[2:3], v[6:7], s[0:1]
	v_mul_f64 v[4:5], v[4:5], s[0:1]
	v_add_co_u32 v6, vcc_lo, v14, s3
	v_add_co_ci_u32_e32 v7, vcc_lo, s2, v15, vcc_lo
	s_delay_alu instid0(VALU_DEP_2) | instskip(NEXT) | instid1(VALU_DEP_2)
	v_add_co_u32 v14, vcc_lo, v6, s3
	v_add_co_ci_u32_e32 v15, vcc_lo, s2, v7, vcc_lo
	global_store_b128 v[6:7], v[2:5], off
	global_load_b128 v[2:5], v[16:17], off offset:480
	s_waitcnt vmcnt(0) lgkmcnt(0)
	v_mul_f64 v[8:9], v[12:13], v[4:5]
	v_mul_f64 v[4:5], v[10:11], v[4:5]
	s_delay_alu instid0(VALU_DEP_2) | instskip(NEXT) | instid1(VALU_DEP_2)
	v_fma_f64 v[8:9], v[10:11], v[2:3], v[8:9]
	v_fma_f64 v[4:5], v[2:3], v[12:13], -v[4:5]
	s_delay_alu instid0(VALU_DEP_2) | instskip(NEXT) | instid1(VALU_DEP_2)
	v_mul_f64 v[2:3], v[8:9], s[0:1]
	v_mul_f64 v[4:5], v[4:5], s[0:1]
	global_store_b128 v[14:15], v[2:5], off
	global_load_b128 v[2:5], v[16:17], off offset:832
	ds_load_b128 v[6:9], v212 offset:4928
	ds_load_b128 v[10:13], v212 offset:5280
	s_waitcnt vmcnt(0) lgkmcnt(1)
	v_mul_f64 v[18:19], v[8:9], v[4:5]
	v_mul_f64 v[4:5], v[6:7], v[4:5]
	s_delay_alu instid0(VALU_DEP_2) | instskip(NEXT) | instid1(VALU_DEP_2)
	v_fma_f64 v[6:7], v[6:7], v[2:3], v[18:19]
	v_fma_f64 v[4:5], v[2:3], v[8:9], -v[4:5]
	s_delay_alu instid0(VALU_DEP_2) | instskip(NEXT) | instid1(VALU_DEP_2)
	v_mul_f64 v[2:3], v[6:7], s[0:1]
	v_mul_f64 v[4:5], v[4:5], s[0:1]
	v_add_co_u32 v6, vcc_lo, v14, s3
	v_add_co_ci_u32_e32 v7, vcc_lo, s2, v15, vcc_lo
	global_store_b128 v[6:7], v[2:5], off
	global_load_b128 v[2:5], v[16:17], off offset:1184
	v_add_co_u32 v6, vcc_lo, v6, s3
	v_add_co_ci_u32_e32 v7, vcc_lo, s2, v7, vcc_lo
	s_waitcnt vmcnt(0) lgkmcnt(0)
	v_mul_f64 v[8:9], v[12:13], v[4:5]
	v_mul_f64 v[4:5], v[10:11], v[4:5]
	s_delay_alu instid0(VALU_DEP_2) | instskip(NEXT) | instid1(VALU_DEP_2)
	v_fma_f64 v[8:9], v[10:11], v[2:3], v[8:9]
	v_fma_f64 v[4:5], v[2:3], v[12:13], -v[4:5]
	scratch_load_b32 v12, off, off offset:308 ; 4-byte Folded Reload
	v_mul_f64 v[2:3], v[8:9], s[0:1]
	v_mul_f64 v[4:5], v[4:5], s[0:1]
	global_store_b128 v[6:7], v[2:5], off
	s_waitcnt vmcnt(0)
	v_lshlrev_b32_e32 v8, 4, v12
	global_load_b128 v[2:5], v8, s[12:13]
	ds_load_b128 v[6:9], v212 offset:5632
	s_waitcnt vmcnt(0) lgkmcnt(0)
	v_mul_f64 v[10:11], v[8:9], v[4:5]
	v_mul_f64 v[4:5], v[6:7], v[4:5]
	s_delay_alu instid0(VALU_DEP_2) | instskip(NEXT) | instid1(VALU_DEP_2)
	v_fma_f64 v[6:7], v[6:7], v[2:3], v[10:11]
	v_fma_f64 v[4:5], v[2:3], v[8:9], -v[4:5]
	v_mad_u64_u32 v[8:9], null, s4, v12, 0
	s_delay_alu instid0(VALU_DEP_3) | instskip(NEXT) | instid1(VALU_DEP_3)
	v_mul_f64 v[2:3], v[6:7], s[0:1]
	v_mul_f64 v[4:5], v[4:5], s[0:1]
	s_delay_alu instid0(VALU_DEP_3) | instskip(NEXT) | instid1(VALU_DEP_1)
	v_mov_b32_e32 v6, v9
	v_mad_u64_u32 v[9:10], null, s5, v12, v[6:7]
	s_delay_alu instid0(VALU_DEP_1) | instskip(NEXT) | instid1(VALU_DEP_1)
	v_lshlrev_b64 v[6:7], 4, v[8:9]
	v_add_co_u32 v0, vcc_lo, v0, v6
	s_delay_alu instid0(VALU_DEP_2)
	v_add_co_ci_u32_e32 v1, vcc_lo, v1, v7, vcc_lo
	global_store_b128 v[0:1], v[2:5], off
.LBB0_23:
	s_nop 0
	s_sendmsg sendmsg(MSG_DEALLOC_VGPRS)
	s_endpgm
	.section	.rodata,"a",@progbits
	.p2align	6, 0x0
	.amdhsa_kernel bluestein_single_back_len374_dim1_dp_op_CI_CI
		.amdhsa_group_segment_fixed_size 41888
		.amdhsa_private_segment_fixed_size 680
		.amdhsa_kernarg_size 104
		.amdhsa_user_sgpr_count 15
		.amdhsa_user_sgpr_dispatch_ptr 0
		.amdhsa_user_sgpr_queue_ptr 0
		.amdhsa_user_sgpr_kernarg_segment_ptr 1
		.amdhsa_user_sgpr_dispatch_id 0
		.amdhsa_user_sgpr_private_segment_size 0
		.amdhsa_wavefront_size32 1
		.amdhsa_uses_dynamic_stack 0
		.amdhsa_enable_private_segment 1
		.amdhsa_system_sgpr_workgroup_id_x 1
		.amdhsa_system_sgpr_workgroup_id_y 0
		.amdhsa_system_sgpr_workgroup_id_z 0
		.amdhsa_system_sgpr_workgroup_info 0
		.amdhsa_system_vgpr_workitem_id 0
		.amdhsa_next_free_vgpr 256
		.amdhsa_next_free_sgpr 60
		.amdhsa_reserve_vcc 1
		.amdhsa_float_round_mode_32 0
		.amdhsa_float_round_mode_16_64 0
		.amdhsa_float_denorm_mode_32 3
		.amdhsa_float_denorm_mode_16_64 3
		.amdhsa_dx10_clamp 1
		.amdhsa_ieee_mode 1
		.amdhsa_fp16_overflow 0
		.amdhsa_workgroup_processor_mode 1
		.amdhsa_memory_ordered 1
		.amdhsa_forward_progress 0
		.amdhsa_shared_vgpr_count 0
		.amdhsa_exception_fp_ieee_invalid_op 0
		.amdhsa_exception_fp_denorm_src 0
		.amdhsa_exception_fp_ieee_div_zero 0
		.amdhsa_exception_fp_ieee_overflow 0
		.amdhsa_exception_fp_ieee_underflow 0
		.amdhsa_exception_fp_ieee_inexact 0
		.amdhsa_exception_int_div_zero 0
	.end_amdhsa_kernel
	.text
.Lfunc_end0:
	.size	bluestein_single_back_len374_dim1_dp_op_CI_CI, .Lfunc_end0-bluestein_single_back_len374_dim1_dp_op_CI_CI
                                        ; -- End function
	.section	.AMDGPU.csdata,"",@progbits
; Kernel info:
; codeLenInByte = 30488
; NumSgprs: 62
; NumVgprs: 256
; ScratchSize: 680
; MemoryBound: 0
; FloatMode: 240
; IeeeMode: 1
; LDSByteSize: 41888 bytes/workgroup (compile time only)
; SGPRBlocks: 7
; VGPRBlocks: 31
; NumSGPRsForWavesPerEU: 62
; NumVGPRsForWavesPerEU: 256
; Occupancy: 5
; WaveLimiterHint : 1
; COMPUTE_PGM_RSRC2:SCRATCH_EN: 1
; COMPUTE_PGM_RSRC2:USER_SGPR: 15
; COMPUTE_PGM_RSRC2:TRAP_HANDLER: 0
; COMPUTE_PGM_RSRC2:TGID_X_EN: 1
; COMPUTE_PGM_RSRC2:TGID_Y_EN: 0
; COMPUTE_PGM_RSRC2:TGID_Z_EN: 0
; COMPUTE_PGM_RSRC2:TIDIG_COMP_CNT: 0
	.text
	.p2alignl 7, 3214868480
	.fill 96, 4, 3214868480
	.type	__hip_cuid_d8f487fe99f1748d,@object ; @__hip_cuid_d8f487fe99f1748d
	.section	.bss,"aw",@nobits
	.globl	__hip_cuid_d8f487fe99f1748d
__hip_cuid_d8f487fe99f1748d:
	.byte	0                               ; 0x0
	.size	__hip_cuid_d8f487fe99f1748d, 1

	.ident	"AMD clang version 19.0.0git (https://github.com/RadeonOpenCompute/llvm-project roc-6.4.0 25133 c7fe45cf4b819c5991fe208aaa96edf142730f1d)"
	.section	".note.GNU-stack","",@progbits
	.addrsig
	.addrsig_sym __hip_cuid_d8f487fe99f1748d
	.amdgpu_metadata
---
amdhsa.kernels:
  - .args:
      - .actual_access:  read_only
        .address_space:  global
        .offset:         0
        .size:           8
        .value_kind:     global_buffer
      - .actual_access:  read_only
        .address_space:  global
        .offset:         8
        .size:           8
        .value_kind:     global_buffer
      - .actual_access:  read_only
        .address_space:  global
        .offset:         16
        .size:           8
        .value_kind:     global_buffer
      - .actual_access:  read_only
        .address_space:  global
        .offset:         24
        .size:           8
        .value_kind:     global_buffer
      - .actual_access:  read_only
        .address_space:  global
        .offset:         32
        .size:           8
        .value_kind:     global_buffer
      - .offset:         40
        .size:           8
        .value_kind:     by_value
      - .address_space:  global
        .offset:         48
        .size:           8
        .value_kind:     global_buffer
      - .address_space:  global
        .offset:         56
        .size:           8
        .value_kind:     global_buffer
      - .address_space:  global
        .offset:         64
        .size:           8
        .value_kind:     global_buffer
      - .address_space:  global
        .offset:         72
        .size:           8
        .value_kind:     global_buffer
      - .offset:         80
        .size:           4
        .value_kind:     by_value
      - .address_space:  global
        .offset:         88
        .size:           8
        .value_kind:     global_buffer
      - .address_space:  global
        .offset:         96
        .size:           8
        .value_kind:     global_buffer
    .group_segment_fixed_size: 41888
    .kernarg_segment_align: 8
    .kernarg_segment_size: 104
    .language:       OpenCL C
    .language_version:
      - 2
      - 0
    .max_flat_workgroup_size: 238
    .name:           bluestein_single_back_len374_dim1_dp_op_CI_CI
    .private_segment_fixed_size: 680
    .sgpr_count:     62
    .sgpr_spill_count: 0
    .symbol:         bluestein_single_back_len374_dim1_dp_op_CI_CI.kd
    .uniform_work_group_size: 1
    .uses_dynamic_stack: false
    .vgpr_count:     256
    .vgpr_spill_count: 235
    .wavefront_size: 32
    .workgroup_processor_mode: 1
amdhsa.target:   amdgcn-amd-amdhsa--gfx1100
amdhsa.version:
  - 1
  - 2
...

	.end_amdgpu_metadata
